;; amdgpu-corpus repo=ROCm/rocFFT kind=compiled arch=gfx906 opt=O3
	.text
	.amdgcn_target "amdgcn-amd-amdhsa--gfx906"
	.amdhsa_code_object_version 6
	.protected	fft_rtc_fwd_len1632_factors_17_2_2_3_8_wgs_102_tpt_102_halfLds_half_ip_CI_unitstride_sbrr_R2C_dirReg ; -- Begin function fft_rtc_fwd_len1632_factors_17_2_2_3_8_wgs_102_tpt_102_halfLds_half_ip_CI_unitstride_sbrr_R2C_dirReg
	.globl	fft_rtc_fwd_len1632_factors_17_2_2_3_8_wgs_102_tpt_102_halfLds_half_ip_CI_unitstride_sbrr_R2C_dirReg
	.p2align	8
	.type	fft_rtc_fwd_len1632_factors_17_2_2_3_8_wgs_102_tpt_102_halfLds_half_ip_CI_unitstride_sbrr_R2C_dirReg,@function
fft_rtc_fwd_len1632_factors_17_2_2_3_8_wgs_102_tpt_102_halfLds_half_ip_CI_unitstride_sbrr_R2C_dirReg: ; @fft_rtc_fwd_len1632_factors_17_2_2_3_8_wgs_102_tpt_102_halfLds_half_ip_CI_unitstride_sbrr_R2C_dirReg
; %bb.0:
	s_load_dwordx2 s[12:13], s[4:5], 0x50
	s_load_dwordx4 s[8:11], s[4:5], 0x0
	s_load_dwordx2 s[2:3], s[4:5], 0x18
	v_mul_u32_u24_e32 v1, 0x283, v0
	v_add_u32_sdwa v5, s6, v1 dst_sel:DWORD dst_unused:UNUSED_PAD src0_sel:DWORD src1_sel:WORD_1
	v_mov_b32_e32 v3, 0
	s_waitcnt lgkmcnt(0)
	v_cmp_lt_u64_e64 s[0:1], s[10:11], 2
	v_mov_b32_e32 v1, 0
	v_mov_b32_e32 v6, v3
	s_and_b64 vcc, exec, s[0:1]
	v_mov_b32_e32 v2, 0
	s_cbranch_vccnz .LBB0_8
; %bb.1:
	s_load_dwordx2 s[0:1], s[4:5], 0x10
	s_add_u32 s6, s2, 8
	s_addc_u32 s7, s3, 0
	v_mov_b32_e32 v1, 0
	v_mov_b32_e32 v2, 0
	s_waitcnt lgkmcnt(0)
	s_add_u32 s14, s0, 8
	s_addc_u32 s15, s1, 0
	s_mov_b64 s[16:17], 1
.LBB0_2:                                ; =>This Inner Loop Header: Depth=1
	s_load_dwordx2 s[18:19], s[14:15], 0x0
                                        ; implicit-def: $vgpr7_vgpr8
	s_waitcnt lgkmcnt(0)
	v_or_b32_e32 v4, s19, v6
	v_cmp_ne_u64_e32 vcc, 0, v[3:4]
	s_and_saveexec_b64 s[0:1], vcc
	s_xor_b64 s[20:21], exec, s[0:1]
	s_cbranch_execz .LBB0_4
; %bb.3:                                ;   in Loop: Header=BB0_2 Depth=1
	v_cvt_f32_u32_e32 v4, s18
	v_cvt_f32_u32_e32 v7, s19
	s_sub_u32 s0, 0, s18
	s_subb_u32 s1, 0, s19
	v_mac_f32_e32 v4, 0x4f800000, v7
	v_rcp_f32_e32 v4, v4
	v_mul_f32_e32 v4, 0x5f7ffffc, v4
	v_mul_f32_e32 v7, 0x2f800000, v4
	v_trunc_f32_e32 v7, v7
	v_mac_f32_e32 v4, 0xcf800000, v7
	v_cvt_u32_f32_e32 v7, v7
	v_cvt_u32_f32_e32 v4, v4
	v_mul_lo_u32 v8, s0, v7
	v_mul_hi_u32 v9, s0, v4
	v_mul_lo_u32 v11, s1, v4
	v_mul_lo_u32 v10, s0, v4
	v_add_u32_e32 v8, v9, v8
	v_add_u32_e32 v8, v8, v11
	v_mul_hi_u32 v9, v4, v10
	v_mul_lo_u32 v11, v4, v8
	v_mul_hi_u32 v13, v4, v8
	v_mul_hi_u32 v12, v7, v10
	v_mul_lo_u32 v10, v7, v10
	v_mul_hi_u32 v14, v7, v8
	v_add_co_u32_e32 v9, vcc, v9, v11
	v_addc_co_u32_e32 v11, vcc, 0, v13, vcc
	v_mul_lo_u32 v8, v7, v8
	v_add_co_u32_e32 v9, vcc, v9, v10
	v_addc_co_u32_e32 v9, vcc, v11, v12, vcc
	v_addc_co_u32_e32 v10, vcc, 0, v14, vcc
	v_add_co_u32_e32 v8, vcc, v9, v8
	v_addc_co_u32_e32 v9, vcc, 0, v10, vcc
	v_add_co_u32_e32 v4, vcc, v4, v8
	v_addc_co_u32_e32 v7, vcc, v7, v9, vcc
	v_mul_lo_u32 v8, s0, v7
	v_mul_hi_u32 v9, s0, v4
	v_mul_lo_u32 v10, s1, v4
	v_mul_lo_u32 v11, s0, v4
	v_add_u32_e32 v8, v9, v8
	v_add_u32_e32 v8, v8, v10
	v_mul_lo_u32 v12, v4, v8
	v_mul_hi_u32 v13, v4, v11
	v_mul_hi_u32 v14, v4, v8
	;; [unrolled: 1-line block ×3, first 2 shown]
	v_mul_lo_u32 v11, v7, v11
	v_mul_hi_u32 v9, v7, v8
	v_add_co_u32_e32 v12, vcc, v13, v12
	v_addc_co_u32_e32 v13, vcc, 0, v14, vcc
	v_mul_lo_u32 v8, v7, v8
	v_add_co_u32_e32 v11, vcc, v12, v11
	v_addc_co_u32_e32 v10, vcc, v13, v10, vcc
	v_addc_co_u32_e32 v9, vcc, 0, v9, vcc
	v_add_co_u32_e32 v8, vcc, v10, v8
	v_addc_co_u32_e32 v9, vcc, 0, v9, vcc
	v_add_co_u32_e32 v4, vcc, v4, v8
	v_addc_co_u32_e32 v9, vcc, v7, v9, vcc
	v_mad_u64_u32 v[7:8], s[0:1], v5, v9, 0
	v_mul_hi_u32 v10, v5, v4
	v_add_co_u32_e32 v11, vcc, v10, v7
	v_addc_co_u32_e32 v12, vcc, 0, v8, vcc
	v_mad_u64_u32 v[7:8], s[0:1], v6, v4, 0
	v_mad_u64_u32 v[9:10], s[0:1], v6, v9, 0
	v_add_co_u32_e32 v4, vcc, v11, v7
	v_addc_co_u32_e32 v4, vcc, v12, v8, vcc
	v_addc_co_u32_e32 v7, vcc, 0, v10, vcc
	v_add_co_u32_e32 v4, vcc, v4, v9
	v_addc_co_u32_e32 v9, vcc, 0, v7, vcc
	v_mul_lo_u32 v10, s19, v4
	v_mul_lo_u32 v11, s18, v9
	v_mad_u64_u32 v[7:8], s[0:1], s18, v4, 0
	v_add3_u32 v8, v8, v11, v10
	v_sub_u32_e32 v10, v6, v8
	v_mov_b32_e32 v11, s19
	v_sub_co_u32_e32 v7, vcc, v5, v7
	v_subb_co_u32_e64 v10, s[0:1], v10, v11, vcc
	v_subrev_co_u32_e64 v11, s[0:1], s18, v7
	v_subbrev_co_u32_e64 v10, s[0:1], 0, v10, s[0:1]
	v_cmp_le_u32_e64 s[0:1], s19, v10
	v_cndmask_b32_e64 v12, 0, -1, s[0:1]
	v_cmp_le_u32_e64 s[0:1], s18, v11
	v_cndmask_b32_e64 v11, 0, -1, s[0:1]
	v_cmp_eq_u32_e64 s[0:1], s19, v10
	v_cndmask_b32_e64 v10, v12, v11, s[0:1]
	v_add_co_u32_e64 v11, s[0:1], 2, v4
	v_addc_co_u32_e64 v12, s[0:1], 0, v9, s[0:1]
	v_add_co_u32_e64 v13, s[0:1], 1, v4
	v_addc_co_u32_e64 v14, s[0:1], 0, v9, s[0:1]
	v_subb_co_u32_e32 v8, vcc, v6, v8, vcc
	v_cmp_ne_u32_e64 s[0:1], 0, v10
	v_cmp_le_u32_e32 vcc, s19, v8
	v_cndmask_b32_e64 v10, v14, v12, s[0:1]
	v_cndmask_b32_e64 v12, 0, -1, vcc
	v_cmp_le_u32_e32 vcc, s18, v7
	v_cndmask_b32_e64 v7, 0, -1, vcc
	v_cmp_eq_u32_e32 vcc, s19, v8
	v_cndmask_b32_e32 v7, v12, v7, vcc
	v_cmp_ne_u32_e32 vcc, 0, v7
	v_cndmask_b32_e64 v7, v13, v11, s[0:1]
	v_cndmask_b32_e32 v8, v9, v10, vcc
	v_cndmask_b32_e32 v7, v4, v7, vcc
.LBB0_4:                                ;   in Loop: Header=BB0_2 Depth=1
	s_andn2_saveexec_b64 s[0:1], s[20:21]
	s_cbranch_execz .LBB0_6
; %bb.5:                                ;   in Loop: Header=BB0_2 Depth=1
	v_cvt_f32_u32_e32 v4, s18
	s_sub_i32 s20, 0, s18
	v_rcp_iflag_f32_e32 v4, v4
	v_mul_f32_e32 v4, 0x4f7ffffe, v4
	v_cvt_u32_f32_e32 v4, v4
	v_mul_lo_u32 v7, s20, v4
	v_mul_hi_u32 v7, v4, v7
	v_add_u32_e32 v4, v4, v7
	v_mul_hi_u32 v4, v5, v4
	v_mul_lo_u32 v7, v4, s18
	v_add_u32_e32 v8, 1, v4
	v_sub_u32_e32 v7, v5, v7
	v_subrev_u32_e32 v9, s18, v7
	v_cmp_le_u32_e32 vcc, s18, v7
	v_cndmask_b32_e32 v7, v7, v9, vcc
	v_cndmask_b32_e32 v4, v4, v8, vcc
	v_add_u32_e32 v8, 1, v4
	v_cmp_le_u32_e32 vcc, s18, v7
	v_cndmask_b32_e32 v7, v4, v8, vcc
	v_mov_b32_e32 v8, v3
.LBB0_6:                                ;   in Loop: Header=BB0_2 Depth=1
	s_or_b64 exec, exec, s[0:1]
	v_mul_lo_u32 v4, v8, s18
	v_mul_lo_u32 v11, v7, s19
	v_mad_u64_u32 v[9:10], s[0:1], v7, s18, 0
	s_load_dwordx2 s[0:1], s[6:7], 0x0
	s_add_u32 s16, s16, 1
	v_add3_u32 v4, v10, v11, v4
	v_sub_co_u32_e32 v5, vcc, v5, v9
	v_subb_co_u32_e32 v4, vcc, v6, v4, vcc
	s_waitcnt lgkmcnt(0)
	v_mul_lo_u32 v4, s0, v4
	v_mul_lo_u32 v6, s1, v5
	v_mad_u64_u32 v[1:2], s[0:1], s0, v5, v[1:2]
	s_addc_u32 s17, s17, 0
	s_add_u32 s6, s6, 8
	v_add3_u32 v2, v6, v2, v4
	v_mov_b32_e32 v4, s10
	v_mov_b32_e32 v5, s11
	s_addc_u32 s7, s7, 0
	v_cmp_ge_u64_e32 vcc, s[16:17], v[4:5]
	s_add_u32 s14, s14, 8
	s_addc_u32 s15, s15, 0
	s_cbranch_vccnz .LBB0_9
; %bb.7:                                ;   in Loop: Header=BB0_2 Depth=1
	v_mov_b32_e32 v5, v7
	v_mov_b32_e32 v6, v8
	s_branch .LBB0_2
.LBB0_8:
	v_mov_b32_e32 v8, v6
	v_mov_b32_e32 v7, v5
.LBB0_9:
	s_lshl_b64 s[0:1], s[10:11], 3
	s_add_u32 s0, s2, s0
	s_addc_u32 s1, s3, s1
	s_load_dwordx2 s[2:3], s[0:1], 0x0
	s_load_dwordx2 s[6:7], s[4:5], 0x20
	s_waitcnt lgkmcnt(0)
	v_mad_u64_u32 v[1:2], s[0:1], s2, v7, v[1:2]
	s_mov_b32 s0, 0x2828283
	v_mul_lo_u32 v3, s2, v8
	v_mul_lo_u32 v4, s3, v7
	v_mul_hi_u32 v5, v0, s0
	v_cmp_gt_u64_e64 s[0:1], s[6:7], v[7:8]
	v_add3_u32 v2, v4, v2, v3
	v_mul_u32_u24_e32 v3, 0x66, v5
	v_sub_u32_e32 v0, v0, v3
	v_lshlrev_b64 v[2:3], 2, v[1:2]
	v_lshl_add_u32 v20, v0, 2, 0
	s_and_saveexec_b64 s[2:3], s[0:1]
	s_cbranch_execz .LBB0_11
; %bb.10:
	v_mov_b32_e32 v1, 0
	v_mov_b32_e32 v4, s13
	v_add_co_u32_e32 v6, vcc, s12, v2
	v_addc_co_u32_e32 v7, vcc, v4, v3, vcc
	v_lshlrev_b64 v[4:5], 2, v[0:1]
	v_add_u32_e32 v24, 0xe00, v20
	v_add_co_u32_e32 v4, vcc, v6, v4
	v_addc_co_u32_e32 v5, vcc, v7, v5, vcc
	v_add_co_u32_e32 v6, vcc, 0x1000, v4
	global_load_dword v1, v[4:5], off
	global_load_dword v8, v[4:5], off offset:408
	global_load_dword v9, v[4:5], off offset:816
	;; [unrolled: 1-line block ×7, first 2 shown]
	v_addc_co_u32_e32 v7, vcc, 0, v5, vcc
	global_load_dword v15, v[4:5], off offset:3264
	global_load_dword v16, v[4:5], off offset:3672
	;; [unrolled: 1-line block ×8, first 2 shown]
	v_add_u32_e32 v4, 0x200, v20
	v_add_u32_e32 v5, 0x400, v20
	;; [unrolled: 1-line block ×6, first 2 shown]
	s_waitcnt vmcnt(14)
	ds_write2_b32 v20, v1, v8 offset1:102
	s_waitcnt vmcnt(12)
	ds_write2_b32 v4, v9, v10 offset0:76 offset1:178
	s_waitcnt vmcnt(10)
	ds_write2_b32 v5, v11, v12 offset0:152 offset1:254
	;; [unrolled: 2-line block ×7, first 2 shown]
.LBB0_11:
	s_or_b64 exec, exec, s[2:3]
	s_waitcnt lgkmcnt(0)
	s_barrier
	ds_read2_b32 v[4:5], v20 offset1:96
	ds_read_b32 v36, v20 offset:6144
	v_add_u32_e32 v22, 0x1400, v20
	v_add_u32_e32 v23, 0x200, v20
	ds_read2_b32 v[6:7], v22 offset0:64 offset1:160
	ds_read2_b32 v[16:17], v23 offset0:64 offset1:160
	s_waitcnt lgkmcnt(2)
	v_pk_add_f16 v29, v5, v36 neg_lo:[0,1] neg_hi:[0,1]
	s_mov_b32 s20, 0xb5c8
	v_pk_add_f16 v32, v36, v5
	s_movk_i32 s4, 0x3b76
	v_mul_f16_sdwa v46, v29, s20 dst_sel:DWORD dst_unused:UNUSED_PAD src0_sel:WORD_1 src1_sel:DWORD
	s_waitcnt lgkmcnt(0)
	v_pk_add_f16 v30, v16, v7 neg_lo:[0,1] neg_hi:[0,1]
	s_mov_b32 s26, 0xb964
	v_lshrrev_b32_e32 v52, 16, v32
	v_mul_f16_e32 v51, 0xb5c8, v29
	v_fma_f16 v1, v32, s4, v46
	v_pk_add_f16 v33, v7, v16
	s_movk_i32 s5, 0x39e9
	v_mul_f16_sdwa v47, v30, s26 dst_sel:DWORD dst_unused:UNUSED_PAD src0_sel:WORD_1 src1_sel:DWORD
	v_add_f16_e32 v1, v4, v1
	v_fma_f16 v8, v52, s4, -v51
	v_lshrrev_b32_e32 v55, 16, v33
	v_mul_f16_e32 v53, 0xb964, v30
	v_fma_f16 v9, v33, s5, v47
	v_pk_add_f16 v31, v17, v6 neg_lo:[0,1] neg_hi:[0,1]
	s_mov_b32 s23, 0xbb29
	v_add_f16_sdwa v8, v4, v8 dst_sel:DWORD dst_unused:UNUSED_PAD src0_sel:WORD_1 src1_sel:DWORD
	v_add_f16_e32 v1, v9, v1
	v_fma_f16 v9, v55, s5, -v53
	v_pk_add_f16 v34, v6, v17
	s_movk_i32 s6, 0x3722
	v_mul_f16_sdwa v48, v31, s23 dst_sel:DWORD dst_unused:UNUSED_PAD src0_sel:WORD_1 src1_sel:DWORD
	v_add_f16_e32 v10, v9, v8
	v_fma_f16 v8, v34, s6, v48
	v_add_u32_e32 v24, 0x1000, v20
	v_add_f16_e32 v1, v8, v1
	v_add_u32_e32 v27, 0x400, v20
	ds_read2_b32 v[8:9], v24 offset0:128 offset1:224
	ds_read2_b32 v[18:19], v27 offset0:128 offset1:224
	v_lshrrev_b32_e32 v58, 16, v34
	v_mul_f16_e32 v57, 0xbb29, v31
	s_mov_b32 s25, 0xbbf7
	v_fma_f16 v11, v58, s6, -v57
	s_waitcnt lgkmcnt(0)
	v_pk_add_f16 v35, v18, v9 neg_lo:[0,1] neg_hi:[0,1]
	s_movk_i32 s7, 0x2de8
	v_pk_add_f16 v38, v9, v18
	v_mul_f16_sdwa v49, v35, s25 dst_sel:DWORD dst_unused:UNUSED_PAD src0_sel:WORD_1 src1_sel:DWORD
	v_add_f16_e32 v10, v11, v10
	v_fma_f16 v11, v38, s7, v49
	v_lshrrev_b32_e32 v62, 16, v38
	v_mul_f16_e32 v61, 0xbbf7, v35
	s_mov_b32 s10, 0xbbb2
	v_pk_add_f16 v37, v19, v8 neg_lo:[0,1] neg_hi:[0,1]
	v_add_f16_e32 v1, v11, v1
	v_fma_f16 v11, v62, s7, -v61
	s_mov_b32 s11, 0xb461
	v_pk_add_f16 v39, v8, v19
	v_mul_f16_sdwa v50, v37, s10 dst_sel:DWORD dst_unused:UNUSED_PAD src0_sel:WORD_1 src1_sel:DWORD
	v_add_f16_e32 v14, v11, v10
	v_fma_f16 v10, v39, s11, v50
	v_add_u32_e32 v25, 0x800, v20
	v_add_f16_e32 v1, v10, v1
	v_add_u32_e32 v28, 0xe00, v20
	ds_read2_b32 v[12:13], v25 offset0:64 offset1:160
	ds_read2_b32 v[10:11], v28 offset0:64 offset1:160
	v_lshrrev_b32_e32 v64, 16, v39
	v_mul_f16_e32 v63, 0xbbb2, v37
	s_mov_b32 s14, 0xba62
	v_fma_f16 v15, v64, s11, -v63
	s_waitcnt lgkmcnt(0)
	v_pk_add_f16 v40, v12, v11 neg_lo:[0,1] neg_hi:[0,1]
	s_mov_b32 s15, 0xb8d2
	v_pk_add_f16 v42, v11, v12
	v_mul_f16_sdwa v54, v40, s14 dst_sel:DWORD dst_unused:UNUSED_PAD src0_sel:WORD_1 src1_sel:DWORD
	v_add_f16_e32 v14, v15, v14
	v_fma_f16 v15, v42, s15, v54
	v_lshrrev_b32_e32 v66, 16, v42
	v_mul_f16_e32 v65, 0xba62, v40
	s_mov_b32 s16, 0xb836
	v_pk_add_f16 v41, v13, v10 neg_lo:[0,1] neg_hi:[0,1]
	v_add_f16_e32 v1, v15, v1
	v_fma_f16 v15, v66, s15, -v65
	s_mov_b32 s17, 0xbacd
	v_pk_add_f16 v43, v10, v13
	v_mul_f16_sdwa v60, v41, s16 dst_sel:DWORD dst_unused:UNUSED_PAD src0_sel:WORD_1 src1_sel:DWORD
	v_add_f16_e32 v21, v15, v14
	v_fma_f16 v14, v43, s17, v60
	v_add_u32_e32 v26, 0xc00, v20
	v_add_f16_e32 v1, v14, v1
	ds_read2_b32 v[14:15], v26 offset1:96
	v_lshrrev_b32_e32 v68, 16, v43
	v_mul_f16_e32 v67, 0xb836, v41
	v_fma_f16 v44, v68, s17, -v67
	v_add_f16_e32 v21, v44, v21
	s_mov_b32 s18, 0xb1e1
	s_waitcnt lgkmcnt(0)
	v_pk_add_f16 v44, v14, v15 neg_lo:[0,1] neg_hi:[0,1]
	s_mov_b32 s19, 0xbbdd
	v_pk_add_f16 v45, v15, v14
	v_mul_f16_sdwa v56, v44, s18 dst_sel:DWORD dst_unused:UNUSED_PAD src0_sel:WORD_1 src1_sel:DWORD
	v_fma_f16 v59, v45, s19, v56
	v_lshrrev_b32_e32 v70, 16, v45
	v_mul_f16_e32 v69, 0xb1e1, v44
	v_add_f16_e32 v1, v59, v1
	v_fma_f16 v59, v70, s19, -v69
	s_movk_i32 s2, 0x60
	v_add_f16_e32 v21, v59, v21
	v_cmp_gt_u32_e32 vcc, s2, v0
	s_barrier
	s_and_saveexec_b64 s[2:3], vcc
	s_cbranch_execz .LBB0_13
; %bb.12:
	v_mul_f16_sdwa v71, v29, s26 dst_sel:DWORD dst_unused:UNUSED_PAD src0_sel:WORD_1 src1_sel:DWORD
	v_fma_f16 v59, v32, s5, v71
	v_mul_f16_sdwa v72, v30, s25 dst_sel:DWORD dst_unused:UNUSED_PAD src0_sel:WORD_1 src1_sel:DWORD
	v_add_f16_e32 v59, v4, v59
	v_fma_f16 v73, v33, s7, v72
	v_add_f16_e32 v59, v73, v59
	v_mul_f16_sdwa v73, v31, s14 dst_sel:DWORD dst_unused:UNUSED_PAD src0_sel:WORD_1 src1_sel:DWORD
	v_fma_f16 v74, v34, s15, v73
	v_add_f16_e32 v59, v74, v59
	v_mul_f16_sdwa v74, v35, s18 dst_sel:DWORD dst_unused:UNUSED_PAD src0_sel:WORD_1 src1_sel:DWORD
	v_fma_f16 v75, v38, s19, v74
	s_movk_i32 s29, 0x3836
	v_add_f16_e32 v59, v75, v59
	v_mul_f16_sdwa v75, v37, s29 dst_sel:DWORD dst_unused:UNUSED_PAD src0_sel:WORD_1 src1_sel:DWORD
	v_fma_f16 v76, v39, s17, v75
	s_movk_i32 s27, 0x3bb2
	;; [unrolled: 4-line block ×4, first 2 shown]
	v_add_f16_e32 v59, v78, v59
	v_mul_f16_sdwa v78, v44, s22 dst_sel:DWORD dst_unused:UNUSED_PAD src0_sel:WORD_1 src1_sel:DWORD
	v_fma_f16 v79, v45, s4, v78
	v_add_f16_e32 v59, v79, v59
	v_mul_f16_e32 v79, 0x3722, v52
	v_fma_f16 v80, v29, s21, v79
	v_add_f16_sdwa v81, v4, v80 dst_sel:DWORD dst_unused:UNUSED_PAD src0_sel:WORD_1 src1_sel:DWORD
	v_mul_f16_e32 v80, 0xb8d2, v55
	s_movk_i32 s28, 0x3a62
	v_fma_f16 v82, v30, s28, v80
	v_add_f16_e32 v82, v82, v81
	v_mul_f16_e32 v81, 0xbbdd, v58
	v_fma_f16 v83, v31, s18, v81
	v_add_f16_e32 v83, v83, v82
	v_mul_f16_e32 v82, 0xb461, v62
	;; [unrolled: 3-line block ×4, first 2 shown]
	v_fma_f16 v86, v40, s22, v84
	v_pk_add_f16 v5, v4, v5
	v_add_f16_e32 v86, v86, v85
	v_mul_f16_e32 v85, 0x2de8, v68
	s_movk_i32 s24, 0x3bf7
	v_pk_add_f16 v5, v5, v16
	v_fma_f16 v87, v41, s24, v85
	v_pk_add_f16 v16, v5, v17
	v_mul_f16_e32 v17, 0xbacd, v70
	v_add_f16_e32 v86, v87, v86
	v_fma_f16 v5, v44, s29, v17
	v_add_f16_e32 v5, v5, v86
	v_mul_f16_e32 v86, 0x2de8, v52
	v_pk_add_f16 v16, v16, v18
	v_pk_add_f16 v18, v16, v19
	v_fma_f16 v16, v29, s24, v86
	v_mul_f16_e32 v19, 0xbbdd, v55
	s_movk_i32 s31, 0x31e1
	v_add_f16_sdwa v16, v4, v16 dst_sel:DWORD dst_unused:UNUSED_PAD src0_sel:WORD_1 src1_sel:DWORD
	v_fma_f16 v87, v30, s31, v19
	v_add_f16_e32 v16, v87, v16
	v_mul_f16_e32 v87, 0xb461, v58
	v_fma_f16 v88, v31, s10, v87
	v_add_f16_e32 v16, v88, v16
	v_mul_f16_e32 v88, 0x3b76, v62
	;; [unrolled: 3-line block ×4, first 2 shown]
	v_fma_f16 v91, v40, s29, v90
	v_add_f16_e32 v16, v91, v16
	v_mul_f16_sdwa v91, v29, s25 dst_sel:DWORD dst_unused:UNUSED_PAD src0_sel:WORD_1 src1_sel:DWORD
	v_fma_f16 v92, v32, s7, v91
	v_mul_f16_sdwa v93, v30, s18 dst_sel:DWORD dst_unused:UNUSED_PAD src0_sel:WORD_1 src1_sel:DWORD
	v_add_f16_e32 v92, v4, v92
	v_fma_f16 v94, v33, s19, v93
	v_add_f16_e32 v92, v94, v92
	v_mul_f16_sdwa v94, v31, s27 dst_sel:DWORD dst_unused:UNUSED_PAD src0_sel:WORD_1 src1_sel:DWORD
	v_fma_f16 v95, v34, s11, v94
	v_add_f16_e32 v92, v95, v92
	v_mul_f16_sdwa v95, v35, s22 dst_sel:DWORD dst_unused:UNUSED_PAD src0_sel:WORD_1 src1_sel:DWORD
	;; [unrolled: 3-line block ×5, first 2 shown]
	v_fma_f16 v99, v43, s15, v98
	s_movk_i32 s30, 0x3964
	v_add_f16_e32 v92, v99, v92
	v_mul_f16_sdwa v99, v44, s30 dst_sel:DWORD dst_unused:UNUSED_PAD src0_sel:WORD_1 src1_sel:DWORD
	v_fma_f16 v100, v45, s5, v99
	v_add_f16_e32 v92, v100, v92
	v_mul_f16_e32 v100, 0xb461, v52
	v_fma_f16 v101, v29, s27, v100
	v_mul_f16_e32 v102, 0xbacd, v55
	v_add_f16_sdwa v101, v4, v101 dst_sel:DWORD dst_unused:UNUSED_PAD src0_sel:WORD_1 src1_sel:DWORD
	v_fma_f16 v103, v30, s16, v102
	v_add_f16_e32 v101, v103, v101
	v_mul_f16_e32 v103, 0x39e9, v58
	v_fma_f16 v104, v31, s26, v103
	v_add_f16_e32 v101, v104, v101
	v_mul_f16_e32 v104, 0x3722, v62
	;; [unrolled: 3-line block ×6, first 2 shown]
	v_fma_f16 v109, v44, s28, v108
	v_add_f16_e32 v101, v109, v101
	v_mul_f16_sdwa v109, v29, s10 dst_sel:DWORD dst_unused:UNUSED_PAD src0_sel:WORD_1 src1_sel:DWORD
	v_fma_f16 v110, v32, s11, v109
	v_mul_f16_sdwa v111, v30, s29 dst_sel:DWORD dst_unused:UNUSED_PAD src0_sel:WORD_1 src1_sel:DWORD
	v_add_f16_e32 v110, v4, v110
	v_fma_f16 v112, v33, s17, v111
	v_add_f16_e32 v110, v112, v110
	v_mul_f16_sdwa v112, v31, s30 dst_sel:DWORD dst_unused:UNUSED_PAD src0_sel:WORD_1 src1_sel:DWORD
	v_fma_f16 v113, v34, s5, v112
	v_add_f16_e32 v110, v113, v110
	v_mul_f16_sdwa v113, v35, s23 dst_sel:DWORD dst_unused:UNUSED_PAD src0_sel:WORD_1 src1_sel:DWORD
	;; [unrolled: 3-line block ×6, first 2 shown]
	v_fma_f16 v118, v45, s15, v117
	v_add_f16_e32 v110, v118, v110
	v_mul_f16_e32 v118, 0xb8d2, v52
	v_fma_f16 v119, v29, s28, v118
	v_mul_f16_e32 v120, 0xb461, v55
	v_add_f16_sdwa v119, v4, v119 dst_sel:DWORD dst_unused:UNUSED_PAD src0_sel:WORD_1 src1_sel:DWORD
	v_fma_f16 v121, v30, s10, v120
	v_add_f16_e32 v119, v121, v119
	v_mul_f16_e32 v121, 0x3b76, v58
	v_fma_f16 v122, v31, s22, v121
	v_add_f16_e32 v119, v122, v119
	v_mul_f16_e32 v122, 0xbacd, v62
	;; [unrolled: 3-line block ×6, first 2 shown]
	v_fma_f16 v127, v44, s23, v126
	v_add_f16_e32 v119, v127, v119
	v_mul_f16_sdwa v127, v29, s14 dst_sel:DWORD dst_unused:UNUSED_PAD src0_sel:WORD_1 src1_sel:DWORD
	v_fma_f16 v128, v32, s15, v127
	v_mul_f16_sdwa v129, v30, s27 dst_sel:DWORD dst_unused:UNUSED_PAD src0_sel:WORD_1 src1_sel:DWORD
	v_add_f16_e32 v128, v4, v128
	v_fma_f16 v130, v33, s11, v129
	v_add_f16_e32 v128, v130, v128
	v_mul_f16_sdwa v130, v31, s20 dst_sel:DWORD dst_unused:UNUSED_PAD src0_sel:WORD_1 src1_sel:DWORD
	v_fma_f16 v131, v34, s4, v130
	v_add_f16_e32 v128, v131, v128
	v_mul_f16_sdwa v131, v35, s16 dst_sel:DWORD dst_unused:UNUSED_PAD src0_sel:WORD_1 src1_sel:DWORD
	;; [unrolled: 3-line block ×6, first 2 shown]
	v_fma_f16 v136, v45, s6, v135
	v_add_f16_e32 v128, v136, v128
	v_mul_f16_e32 v136, 0xbacd, v52
	v_fma_f16 v137, v29, s29, v136
	v_mul_f16_e32 v138, 0x3722, v55
	v_add_f16_sdwa v137, v4, v137 dst_sel:DWORD dst_unused:UNUSED_PAD src0_sel:WORD_1 src1_sel:DWORD
	v_fma_f16 v139, v30, s23, v138
	v_add_f16_e32 v137, v139, v137
	v_mul_f16_e32 v139, 0x2de8, v58
	v_fma_f16 v140, v31, s24, v139
	v_add_f16_e32 v137, v140, v137
	v_mul_f16_e32 v140, 0xb8d2, v62
	v_fma_f16 v141, v35, s14, v140
	v_add_f16_e32 v137, v141, v137
	v_mul_f16_e32 v141, 0x3b76, v64
	v_fma_f16 v142, v37, s22, v141
	v_add_f16_e32 v137, v142, v137
	v_mul_f16_e32 v142, 0xbbdd, v66
	v_fma_f16 v143, v40, s31, v142
	v_add_f16_e32 v137, v143, v137
	v_mul_f16_e32 v143, 0x39e9, v68
	v_fma_f16 v144, v41, s26, v143
	v_mul_f16_e32 v52, 0x3b76, v52
	v_add_f16_e32 v137, v144, v137
	v_mul_f16_e32 v144, 0xb461, v70
	v_add_f16_e32 v51, v51, v52
	v_mul_f16_e32 v52, 0x39e9, v55
	v_fma_f16 v145, v44, s27, v144
	v_add_f16_e32 v52, v53, v52
	v_mul_f16_e32 v53, 0x3b76, v32
	v_add_f16_sdwa v51, v4, v51 dst_sel:DWORD dst_unused:UNUSED_PAD src0_sel:WORD_1 src1_sel:DWORD
	v_pk_add_f16 v12, v18, v12
	v_add_f16_e32 v137, v145, v137
	v_mul_f16_sdwa v145, v29, s16 dst_sel:DWORD dst_unused:UNUSED_PAD src0_sel:WORD_1 src1_sel:DWORD
	v_fma_f16 v86, v29, s25, v86
	v_add_f16_e32 v51, v52, v51
	v_mul_f16_e32 v52, 0x39e9, v33
	v_mul_f16_e32 v55, 0x3722, v58
	v_sub_f16_e32 v46, v53, v46
	v_pk_add_f16 v12, v12, v13
	v_fma_f16 v146, v32, s17, v145
	v_mul_f16_sdwa v147, v30, s21 dst_sel:DWORD dst_unused:UNUSED_PAD src0_sel:WORD_1 src1_sel:DWORD
	v_fma_f16 v100, v29, s10, v100
	v_add_f16_sdwa v86, v4, v86 dst_sel:DWORD dst_unused:UNUSED_PAD src0_sel:WORD_1 src1_sel:DWORD
	v_fma_f16 v19, v30, s18, v19
	v_add_f16_e32 v55, v57, v55
	v_mul_f16_e32 v57, 0x3722, v34
	v_sub_f16_e32 v47, v52, v47
	v_add_f16_e32 v46, v4, v46
	v_pk_add_f16 v12, v12, v14
	v_add_f16_e32 v146, v4, v146
	v_fma_f16 v148, v33, s6, v147
	v_add_f16_sdwa v100, v4, v100 dst_sel:DWORD dst_unused:UNUSED_PAD src0_sel:WORD_1 src1_sel:DWORD
	v_fma_f16 v102, v30, s29, v102
	v_add_f16_e32 v19, v19, v86
	v_fma_f16 v86, v31, s27, v87
	v_fma_f16 v79, v29, s23, v79
	v_add_f16_e32 v51, v55, v51
	v_mul_f16_e32 v55, 0x2de8, v38
	v_mul_f16_e32 v58, 0x2de8, v62
	v_add_f16_e32 v46, v47, v46
	v_sub_f16_e32 v48, v57, v48
	v_pk_add_f16 v12, v12, v15
	v_add_f16_e32 v146, v148, v146
	v_mul_f16_sdwa v148, v31, s25 dst_sel:DWORD dst_unused:UNUSED_PAD src0_sel:WORD_1 src1_sel:DWORD
	v_fma_f16 v136, v29, s16, v136
	v_add_f16_e32 v100, v102, v100
	v_fma_f16 v102, v31, s30, v103
	v_add_f16_e32 v19, v86, v19
	v_fma_f16 v86, v35, s22, v88
	v_add_f16_sdwa v79, v4, v79 dst_sel:DWORD dst_unused:UNUSED_PAD src0_sel:WORD_1 src1_sel:DWORD
	v_fma_f16 v80, v30, s14, v80
	v_add_f16_e32 v58, v61, v58
	v_mul_f16_e32 v61, 0xb461, v39
	v_mul_f16_e32 v62, 0xb461, v64
	v_add_f16_e32 v46, v48, v46
	v_sub_f16_e32 v49, v55, v49
	v_pk_add_f16 v10, v12, v10
	v_fma_f16 v149, v34, s7, v148
	v_add_f16_sdwa v136, v4, v136 dst_sel:DWORD dst_unused:UNUSED_PAD src0_sel:WORD_1 src1_sel:DWORD
	v_fma_f16 v138, v30, s21, v138
	v_add_f16_e32 v100, v102, v100
	v_fma_f16 v102, v35, s23, v104
	v_add_f16_e32 v19, v86, v19
	;; [unrolled: 2-line block ×4, first 2 shown]
	v_mul_f16_e32 v58, 0xb8d2, v42
	v_mul_f16_e32 v64, 0xb8d2, v66
	v_add_f16_e32 v62, v63, v62
	v_add_f16_e32 v46, v49, v46
	v_sub_f16_e32 v50, v61, v50
	v_pk_add_f16 v10, v10, v11
	v_add_f16_e32 v146, v149, v146
	v_mul_f16_sdwa v149, v35, s28 dst_sel:DWORD dst_unused:UNUSED_PAD src0_sel:WORD_1 src1_sel:DWORD
	v_add_f16_e32 v136, v138, v136
	v_fma_f16 v138, v31, s25, v139
	v_fma_f16 v118, v29, s14, v118
	v_add_f16_e32 v100, v102, v100
	v_fma_f16 v102, v37, s18, v105
	v_add_f16_e32 v19, v86, v19
	;; [unrolled: 2-line block ×3, first 2 shown]
	v_fma_f16 v80, v35, s27, v82
	v_mul_f16_e32 v63, 0xbacd, v43
	v_mul_f16_e32 v66, 0xbacd, v68
	v_add_f16_e32 v51, v62, v51
	v_add_f16_e32 v64, v65, v64
	;; [unrolled: 1-line block ×3, first 2 shown]
	v_sub_f16_e32 v54, v58, v54
	v_pk_add_f16 v8, v10, v8
	v_fma_f16 v150, v38, s15, v149
	v_add_f16_e32 v136, v138, v136
	v_fma_f16 v138, v35, s28, v140
	v_add_f16_sdwa v118, v4, v118 dst_sel:DWORD dst_unused:UNUSED_PAD src0_sel:WORD_1 src1_sel:DWORD
	v_fma_f16 v120, v30, s27, v120
	v_add_f16_e32 v100, v102, v100
	v_fma_f16 v102, v40, s24, v106
	v_add_f16_e32 v19, v86, v19
	v_mul_f16_e32 v86, 0xb8d2, v68
	v_add_f16_e32 v79, v80, v79
	v_fma_f16 v80, v37, s30, v83
	v_mul_f16_e32 v62, 0xbbdd, v45
	v_mul_f16_e32 v68, 0xbbdd, v70
	v_add_f16_e32 v51, v64, v51
	v_add_f16_e32 v66, v67, v66
	;; [unrolled: 1-line block ×3, first 2 shown]
	v_sub_f16_e32 v60, v63, v60
	v_pk_add_f16 v8, v8, v9
	v_add_f16_e32 v146, v150, v146
	v_mul_f16_sdwa v150, v37, s20 dst_sel:DWORD dst_unused:UNUSED_PAD src0_sel:WORD_1 src1_sel:DWORD
	v_add_f16_e32 v136, v138, v136
	v_fma_f16 v138, v37, s20, v141
	v_add_f16_e32 v118, v120, v118
	v_fma_f16 v120, v31, s20, v121
	;; [unrolled: 2-line block ×4, first 2 shown]
	s_mov_b32 s20, 0x39e93722
	v_add_f16_e32 v51, v66, v51
	v_add_f16_e32 v68, v69, v68
	;; [unrolled: 1-line block ×3, first 2 shown]
	v_sub_f16_e32 v56, v62, v56
	v_pk_add_f16 v6, v8, v6
	v_add_f16_e32 v118, v120, v118
	v_fma_f16 v120, v35, s16, v122
	v_pk_mul_f16 v65, v32, s20
	s_mov_b32 s20, 0xbb29b964
	s_mov_b32 s23, 0x2de8b8d2
	v_add_f16_e32 v51, v68, v51
	v_add_f16_e32 v46, v56, v46
	v_pk_add_f16 v6, v6, v7
	v_add_f16_e32 v118, v120, v118
	v_fma_f16 v120, v37, s24, v123
	v_fma_f16 v87, v41, s28, v86
	v_add_f16_e32 v79, v80, v79
	v_fma_f16 v80, v41, s25, v85
	v_pk_fma_f16 v64, v29, s20, v65 op_sel:[0,0,1] op_sel_hi:[1,1,0] neg_lo:[1,0,0] neg_hi:[1,0,0]
	v_pk_mul_f16 v67, v33, s23
	s_mov_b32 s23, 0xba62bbf7
	s_mov_b32 s25, 0xb8d2bbdd
	v_pk_fma_f16 v65, v29, s20, v65 op_sel:[0,0,1] op_sel_hi:[1,1,0]
	v_lshl_add_u32 v56, v0, 6, v20
	v_pk_add_f16 v6, v6, v36
	v_pack_b32_f16 v7, v46, v51
	s_mov_b32 s20, 0xffff
	v_add_f16_e32 v136, v138, v136
	v_fma_f16 v138, v40, s18, v142
	v_add_f16_e32 v118, v120, v118
	v_fma_f16 v120, v40, s26, v124
	v_add_f16_e32 v19, v87, v19
	v_mul_f16_e32 v87, 0x39e9, v70
	v_pk_fma_f16 v66, v30, s23, v67 op_sel:[0,0,1] op_sel_hi:[1,1,0] neg_lo:[1,0,0] neg_hi:[1,0,0]
	v_pk_mul_f16 v69, v34, s25
	s_mov_b32 s25, 0x31e1ba62
	s_mov_b32 s26, 0xbbddb461
	v_pk_fma_f16 v67, v30, s23, v67 op_sel:[0,0,1] op_sel_hi:[1,1,0]
	ds_write2_b32 v56, v6, v7 offset1:1
	v_bfi_b32 v6, s20, v65, v64
	v_add_f16_e32 v136, v138, v136
	v_fma_f16 v138, v41, s30, v143
	v_add_f16_e32 v118, v120, v118
	v_fma_f16 v120, v41, s18, v125
	;; [unrolled: 2-line block ×3, first 2 shown]
	v_fma_f16 v88, v44, s30, v87
	v_fma_f16 v71, v32, s5, -v71
	v_pk_fma_f16 v68, v31, s25, v69 op_sel:[0,0,1] op_sel_hi:[1,1,0] neg_lo:[1,0,0] neg_hi:[1,0,0]
	v_pk_mul_f16 v53, v38, s26
	s_mov_b32 s26, 0x3bb2b1e1
	s_mov_b32 s27, 0xbacd39e9
	v_pk_fma_f16 v69, v31, s25, v69 op_sel:[0,0,1] op_sel_hi:[1,1,0]
	v_pk_add_f16 v6, v4, v6 op_sel:[1,0] op_sel_hi:[0,1]
	v_bfi_b32 v7, s20, v67, v66
	v_add_f16_e32 v136, v138, v136
	v_fma_f16 v138, v44, s10, v144
	v_add_f16_e32 v118, v120, v118
	v_fma_f16 v120, v44, s21, v126
	v_add_f16_e32 v100, v102, v100
	v_fma_f16 v102, v32, s11, -v109
	v_add_f16_e32 v19, v88, v19
	v_fma_f16 v88, v32, s7, -v91
	;; [unrolled: 2-line block ×3, first 2 shown]
	v_pk_fma_f16 v52, v35, s26, v53 op_sel:[0,0,1] op_sel_hi:[1,1,0] neg_lo:[1,0,0] neg_hi:[1,0,0]
	v_pk_mul_f16 v47, v39, s27
	s_mov_b32 s27, 0x39643836
	s_mov_b32 s28, 0xb4613b76
	v_pk_fma_f16 v53, v35, s26, v53 op_sel:[0,0,1] op_sel_hi:[1,1,0]
	v_pk_add_f16 v6, v7, v6
	v_bfi_b32 v7, s20, v69, v68
	v_add_f16_e32 v136, v138, v136
	v_fma_f16 v138, v32, s17, -v145
	v_add_f16_e32 v118, v120, v118
	v_fma_f16 v120, v32, s15, -v127
	;; [unrolled: 2-line block ×5, first 2 shown]
	v_pk_fma_f16 v57, v37, s27, v47 op_sel:[0,0,1] op_sel_hi:[1,1,0] neg_lo:[1,0,0] neg_hi:[1,0,0]
	v_pk_mul_f16 v48, v42, s28
	s_mov_b32 s28, 0xb5c83bb2
	s_mov_b32 s29, 0x37222de8
	v_pk_fma_f16 v47, v37, s27, v47 op_sel:[0,0,1] op_sel_hi:[1,1,0]
	v_pk_add_f16 v6, v7, v6
	v_bfi_b32 v7, s20, v53, v52
	v_fma_f16 v151, v39, s4, v150
	v_add_f16_e32 v138, v4, v138
	v_fma_f16 v139, v33, s6, -v147
	v_add_f16_e32 v120, v4, v120
	v_fma_f16 v121, v33, s11, -v129
	;; [unrolled: 2-line block ×5, first 2 shown]
	v_pk_fma_f16 v55, v40, s28, v48 op_sel:[0,0,1] op_sel_hi:[1,1,0] neg_lo:[1,0,0] neg_hi:[1,0,0]
	v_pk_mul_f16 v49, v43, s29
	s_mov_b32 s29, 0xbbf73b29
	v_pk_fma_f16 v48, v40, s28, v48 op_sel:[0,0,1] op_sel_hi:[1,1,0]
	v_pk_add_f16 v6, v7, v6
	v_bfi_b32 v7, s20, v47, v57
	v_add_f16_e32 v146, v151, v146
	v_mul_f16_sdwa v151, v40, s18 dst_sel:DWORD dst_unused:UNUSED_PAD src0_sel:WORD_1 src1_sel:DWORD
	v_add_f16_e32 v138, v139, v138
	v_fma_f16 v139, v34, s7, -v148
	v_add_f16_e32 v120, v121, v120
	v_fma_f16 v121, v34, s4, -v130
	;; [unrolled: 2-line block ×5, first 2 shown]
	v_pk_fma_f16 v61, v41, s29, v49 op_sel:[0,0,1] op_sel_hi:[1,1,0] neg_lo:[1,0,0] neg_hi:[1,0,0]
	s_mov_b32 s31, 0x3b76bacd
	v_pk_fma_f16 v49, v41, s29, v49 op_sel:[0,0,1] op_sel_hi:[1,1,0]
	v_pk_add_f16 v6, v7, v6
	v_bfi_b32 v7, s20, v48, v55
	v_fma_f16 v152, v42, s19, v151
	v_add_f16_e32 v138, v139, v138
	v_fma_f16 v139, v38, s15, -v149
	v_add_f16_e32 v120, v121, v120
	v_fma_f16 v121, v38, s17, -v131
	;; [unrolled: 2-line block ×5, first 2 shown]
	v_pk_mul_f16 v50, v45, s31
	s_mov_b32 s31, 0xb83635c8
	v_pk_add_f16 v6, v7, v6
	v_bfi_b32 v7, s20, v49, v61
	v_add_f16_e32 v146, v152, v146
	v_mul_f16_sdwa v152, v41, s30 dst_sel:DWORD dst_unused:UNUSED_PAD src0_sel:WORD_1 src1_sel:DWORD
	v_add_f16_e32 v138, v139, v138
	v_fma_f16 v139, v39, s4, -v150
	v_add_f16_e32 v120, v121, v120
	v_fma_f16 v121, v39, s7, -v132
	;; [unrolled: 2-line block ×5, first 2 shown]
	v_pk_fma_f16 v54, v44, s31, v50 op_sel:[0,0,1] op_sel_hi:[1,1,0] neg_lo:[1,0,0] neg_hi:[1,0,0]
	v_pk_add_f16 v6, v7, v6
	v_pk_fma_f16 v7, v44, s31, v50 op_sel:[0,0,1] op_sel_hi:[1,1,0]
	v_fma_f16 v153, v43, s5, v152
	v_add_f16_e32 v138, v139, v138
	v_fma_f16 v139, v42, s19, -v151
	v_add_f16_e32 v120, v121, v120
	v_fma_f16 v121, v42, s5, -v133
	v_add_f16_e32 v102, v103, v102
	v_fma_f16 v103, v43, s4, -v116
	v_add_f16_e32 v88, v89, v88
	v_fma_f16 v89, v43, s15, -v98
	v_add_f16_e32 v79, v80, v79
	v_fma_f16 v17, v44, s16, v17
	v_add_f16_e32 v71, v72, v71
	v_fma_f16 v72, v45, s4, -v78
	v_bfi_b32 v7, s20, v7, v54
	v_add_f16_e32 v146, v153, v146
	v_mul_f16_sdwa v153, v44, s10 dst_sel:DWORD dst_unused:UNUSED_PAD src0_sel:WORD_1 src1_sel:DWORD
	v_add_f16_e32 v138, v139, v138
	v_fma_f16 v139, v43, s5, -v152
	v_add_f16_e32 v120, v121, v120
	v_fma_f16 v121, v43, s19, -v134
	v_add_f16_e32 v102, v103, v102
	v_fma_f16 v103, v45, s15, -v117
	v_add_f16_e32 v88, v89, v88
	v_fma_f16 v89, v45, s5, -v99
	v_add_f16_e32 v17, v17, v79
	v_add_f16_e32 v71, v72, v71
	v_pk_add_f16 v6, v7, v6
	v_add_f16_e32 v138, v139, v138
	v_fma_f16 v139, v45, s11, -v153
	v_add_f16_e32 v120, v121, v120
	v_fma_f16 v121, v45, s6, -v135
	v_add_f16_e32 v102, v103, v102
	v_add_f16_e32 v88, v89, v88
	v_alignbit_b32 v7, v17, v6, 16
	v_pack_b32_f16 v6, v71, v6
	v_add_f16_e32 v138, v139, v138
	v_add_f16_e32 v120, v121, v120
	ds_write2_b32 v56, v6, v7 offset0:2 offset1:3
	v_pack_b32_f16 v6, v102, v100
	v_pack_b32_f16 v7, v88, v19
	ds_write2_b32 v56, v7, v6 offset0:4 offset1:5
	v_pack_b32_f16 v6, v138, v136
	v_pack_b32_f16 v7, v120, v118
	ds_write2_b32 v56, v7, v6 offset0:6 offset1:7
	v_pk_mul_f16 v6, v32, s19 op_sel_hi:[1,0]
	v_pk_fma_f16 v7, v29, s18, v6 op_sel:[0,0,1] op_sel_hi:[1,0,0] neg_lo:[1,0,0] neg_hi:[1,0,0]
	v_pk_mul_f16 v8, v33, s4 op_sel_hi:[1,0]
	v_pk_add_f16 v7, v4, v7 op_sel:[1,0] op_sel_hi:[0,1]
	v_pk_fma_f16 v9, v30, s22, v8 op_sel:[0,0,1] op_sel_hi:[1,0,0] neg_lo:[1,0,0] neg_hi:[1,0,0]
	v_pk_add_f16 v7, v9, v7
	v_pk_mul_f16 v9, v34, s17 op_sel_hi:[1,0]
	v_pk_fma_f16 v10, v31, s16, v9 op_sel:[0,0,1] op_sel_hi:[1,0,0] neg_lo:[1,0,0] neg_hi:[1,0,0]
	v_pk_add_f16 v7, v10, v7
	v_pk_mul_f16 v10, v38, s5 op_sel_hi:[1,0]
	;; [unrolled: 3-line block ×3, first 2 shown]
	v_pk_fma_f16 v6, v29, s18, v6 op_sel:[0,0,1] op_sel_hi:[1,0,0]
	v_add_f16_sdwa v63, v4, v64 dst_sel:DWORD dst_unused:UNUSED_PAD src0_sel:WORD_1 src1_sel:DWORD
	v_pk_add_f16 v60, v4, v65 op_sel:[1,0] op_sel_hi:[0,1]
	v_pk_fma_f16 v12, v37, s14, v11 op_sel:[0,0,1] op_sel_hi:[1,0,0] neg_lo:[1,0,0] neg_hi:[1,0,0]
	v_pk_add_f16 v4, v4, v6 op_sel:[1,0] op_sel_hi:[0,1]
	v_pk_fma_f16 v6, v30, s22, v8 op_sel:[0,0,1] op_sel_hi:[1,0,0]
	v_pk_add_f16 v7, v12, v7
	v_pk_mul_f16 v12, v42, s6 op_sel_hi:[1,0]
	v_pk_add_f16 v4, v6, v4
	v_pk_fma_f16 v6, v31, s16, v9 op_sel:[0,0,1] op_sel_hi:[1,0,0]
	v_pk_fma_f16 v13, v40, s21, v12 op_sel:[0,0,1] op_sel_hi:[1,0,0] neg_lo:[1,0,0] neg_hi:[1,0,0]
	v_pk_add_f16 v4, v6, v4
	v_pk_fma_f16 v6, v35, s30, v10 op_sel:[0,0,1] op_sel_hi:[1,0,0]
	v_pk_add_f16 v7, v13, v7
	v_pk_mul_f16 v13, v43, s11 op_sel_hi:[1,0]
	v_pk_add_f16 v4, v6, v4
	v_pk_fma_f16 v6, v37, s14, v11 op_sel:[0,0,1] op_sel_hi:[1,0,0]
	v_pk_fma_f16 v14, v41, s10, v13 op_sel:[0,0,1] op_sel_hi:[1,0,0] neg_lo:[1,0,0] neg_hi:[1,0,0]
	v_pk_add_f16 v4, v6, v4
	;; [unrolled: 7-line block ×3, first 2 shown]
	v_pk_fma_f16 v6, v44, s24, v14 op_sel:[0,0,1] op_sel_hi:[1,0,0]
	v_fma_f16 v154, v45, s11, v153
	v_pk_add_f16 v60, v67, v60
	v_pk_add_f16 v7, v15, v7
	;; [unrolled: 1-line block ×3, first 2 shown]
	v_add_f16_e32 v146, v154, v146
	v_pk_add_f16 v60, v69, v60
	v_alignbit_b32 v6, v7, v4, 16
	v_alignbit_b32 v4, v4, v7, 16
	v_pk_add_f16 v60, v53, v60
	ds_write2_b32 v56, v4, v6 offset0:8 offset1:9
	v_pack_b32_f16 v4, v128, v119
	v_pack_b32_f16 v6, v146, v137
	v_pk_mul_f16 v58, v44, s31
	v_add_f16_e32 v63, v66, v63
	v_pk_add_f16 v60, v47, v60
	v_fma_f16 v70, v41, s14, v86
	ds_write2_b32 v56, v6, v4 offset0:10 offset1:11
	v_pack_b32_f16 v4, v110, v101
	v_add_f16_e32 v63, v68, v63
	v_pk_add_f16 v60, v48, v60
	v_mul_f16_e32 v62, 0x3964, v44
	ds_write_b32 v56, v4 offset:48
	v_pack_b32_f16 v4, v70, v50
	v_bfi_b32 v6, s20, v16, v58
	v_add_f16_e32 v63, v52, v63
	v_pk_add_f16 v4, v4, v6
	v_bfi_b32 v6, s20, v62, v60
	v_add_f16_e32 v63, v57, v63
	v_pk_add_f16 v6, v87, v6 neg_lo:[0,1] neg_hi:[0,1]
	v_pk_add_f16 v7, v49, v60
	v_add_f16_e32 v63, v55, v63
	v_bfi_b32 v6, s20, v6, v7
	v_add_f16_e32 v63, v61, v63
	v_pk_add_f16 v4, v6, v4
	v_add_f16_e32 v63, v54, v63
	v_alignbit_b32 v5, v5, v4, 16
	v_pack_b32_f16 v4, v92, v4
	s_mov_b32 s4, 0x5040100
	ds_write2_b32 v56, v4, v5 offset0:13 offset1:14
	v_pack_b32_f16 v4, v59, v63
	v_perm_b32 v5, v21, v1, s4
	ds_write2_b32 v56, v4, v5 offset0:15 offset1:16
.LBB0_13:
	s_or_b64 exec, exec, s[2:3]
	v_add_u32_e32 v38, 0x264, v0
	s_mov_b32 s2, 0xf0f1
	v_mul_u32_u24_sdwa v40, v38, s2 dst_sel:DWORD dst_unused:UNUSED_PAD src0_sel:WORD_0 src1_sel:DWORD
	v_add_u32_e32 v39, 0x2ca, v0
	v_lshrrev_b32_e32 v36, 20, v40
	v_mul_lo_u16_e32 v4, 17, v36
	v_mul_u32_u24_sdwa v41, v39, s2 dst_sel:DWORD dst_unused:UNUSED_PAD src0_sel:WORD_0 src1_sel:DWORD
	v_sub_u16_e32 v4, v38, v4
	v_lshrrev_b32_e32 v42, 20, v41
	v_add_u32_e32 v18, 0x1fe, v0
	v_lshlrev_b32_e32 v37, 2, v4
	v_mul_lo_u16_e32 v4, 17, v42
	v_mul_u32_u24_sdwa v46, v18, s2 dst_sel:DWORD dst_unused:UNUSED_PAD src0_sel:WORD_0 src1_sel:DWORD
	v_sub_u16_e32 v4, v39, v4
	v_lshrrev_b32_e32 v47, 20, v46
	v_add_u32_e32 v32, 0x198, v0
	v_lshlrev_b32_e32 v43, 2, v4
	v_mul_lo_u16_e32 v4, 17, v47
	v_mul_u32_u24_sdwa v33, v32, s2 dst_sel:DWORD dst_unused:UNUSED_PAD src0_sel:WORD_0 src1_sel:DWORD
	v_sub_u16_e32 v4, v18, v4
	v_lshrrev_b32_e32 v50, 20, v33
	v_add_u32_e32 v29, 0x132, v0
	s_waitcnt lgkmcnt(0)
	s_barrier
	global_load_dword v44, v43, s[8:9]
	global_load_dword v45, v37, s[8:9]
	v_lshlrev_b32_e32 v48, 2, v4
	v_mul_lo_u16_e32 v4, 17, v50
	v_mul_u32_u24_sdwa v31, v29, s2 dst_sel:DWORD dst_unused:UNUSED_PAD src0_sel:WORD_0 src1_sel:DWORD
	v_sub_u16_e32 v4, v32, v4
	v_add_u32_e32 v30, 0xcc, v0
	v_lshrrev_b32_e32 v54, 20, v31
	v_lshlrev_b32_e32 v51, 2, v4
	v_mul_lo_u16_e32 v4, 17, v54
	v_mul_u32_u24_sdwa v35, v30, s2 dst_sel:DWORD dst_unused:UNUSED_PAD src0_sel:WORD_0 src1_sel:DWORD
	s_movk_i32 s3, 0xf1
	v_add_u16_e32 v34, 0x66, v0
	v_sub_u16_e32 v4, v29, v4
	v_lshrrev_b32_e32 v57, 20, v35
	v_mul_lo_u16_sdwa v53, v34, s3 dst_sel:DWORD dst_unused:UNUSED_PAD src0_sel:BYTE_0 src1_sel:DWORD
	v_lshlrev_b32_e32 v55, 2, v4
	v_mul_lo_u16_e32 v4, 17, v57
	v_sub_u16_e32 v4, v30, v4
	v_lshrrev_b16_e32 v60, 12, v53
	global_load_dword v49, v48, s[8:9]
	global_load_dword v52, v51, s[8:9]
	;; [unrolled: 1-line block ×3, first 2 shown]
	v_lshlrev_b32_e32 v58, 2, v4
	global_load_dword v59, v58, s[8:9]
	v_mul_lo_u16_e32 v4, 17, v60
	v_mul_lo_u16_sdwa v63, v0, s3 dst_sel:DWORD dst_unused:UNUSED_PAD src0_sel:BYTE_0 src1_sel:DWORD
	v_sub_u16_e32 v4, v34, v4
	v_mov_b32_e32 v19, 2
	v_lshrrev_b16_e32 v64, 12, v63
	v_lshlrev_b32_sdwa v61, v19, v4 dst_sel:DWORD dst_unused:UNUSED_PAD src0_sel:DWORD src1_sel:BYTE_0
	global_load_dword v62, v61, s[8:9]
	v_mul_lo_u16_e32 v4, 17, v64
	v_sub_u16_e32 v4, v0, v4
	v_lshlrev_b32_sdwa v65, v19, v4 dst_sel:DWORD dst_unused:UNUSED_PAD src0_sel:DWORD src1_sel:BYTE_0
	global_load_dword v66, v65, s[8:9]
	ds_read2_b32 v[4:5], v20 offset1:102
	ds_read2_b32 v[6:7], v26 offset0:48 offset1:150
	ds_read2_b32 v[8:9], v23 offset0:76 offset1:178
	;; [unrolled: 1-line block ×6, first 2 shown]
	v_mul_u32_u24_e32 v47, 0x88, v47
	v_mul_u32_u24_e32 v36, 0x88, v36
	;; [unrolled: 1-line block ×3, first 2 shown]
	v_add3_u32 v47, 0, v47, v48
	v_add3_u32 v48, 0, v36, v37
	s_mov_b32 s2, 0xffff
	v_add3_u32 v50, 0, v50, v51
	v_add_u32_e32 v51, 0x1200, v20
	v_mul_u32_u24_e32 v42, 0x88, v42
	v_add3_u32 v42, 0, v42, v43
	v_mul_u32_u24_e32 v64, 0x88, v64
	v_mul_u32_u24_e32 v60, 0x88, v60
	;; [unrolled: 1-line block ×4, first 2 shown]
	v_add3_u32 v64, 0, v64, v65
	v_add3_u32 v60, 0, v60, v61
	;; [unrolled: 1-line block ×4, first 2 shown]
	v_lshrrev_b32_e32 v40, 21, v40
	v_lshrrev_b16_e32 v53, 13, v53
	v_cmp_gt_u32_e32 vcc, 34, v0
	s_waitcnt vmcnt(7) lgkmcnt(0)
	v_pk_mul_f16 v36, v17, v44 op_sel:[0,1]
	v_pk_fma_f16 v37, v17, v44, v36 op_sel:[0,0,1] op_sel_hi:[1,1,0] neg_lo:[0,0,1] neg_hi:[0,0,1]
	v_pk_fma_f16 v17, v17, v44, v36 op_sel:[0,0,1] op_sel_hi:[1,0,0]
	v_bfi_b32 v17, s2, v37, v17
	ds_read2_b32 v[36:37], v51 offset0:72 offset1:174
	s_waitcnt vmcnt(6)
	v_pk_mul_f16 v43, v16, v45 op_sel:[0,1]
	v_pk_fma_f16 v44, v16, v45, v43 op_sel:[0,0,1] op_sel_hi:[1,1,0] neg_lo:[0,0,1] neg_hi:[0,0,1]
	v_pk_fma_f16 v16, v16, v45, v43 op_sel:[0,0,1] op_sel_hi:[1,0,0]
	v_bfi_b32 v16, s2, v44, v16
	v_pk_add_f16 v17, v15, v17 neg_lo:[0,1] neg_hi:[0,1]
	v_pk_add_f16 v16, v14, v16 neg_lo:[0,1] neg_hi:[0,1]
	v_pk_fma_f16 v15, v15, 2.0, v17 op_sel_hi:[1,0,1] neg_lo:[0,0,1] neg_hi:[0,0,1]
	v_pk_fma_f16 v14, v14, 2.0, v16 op_sel_hi:[1,0,1] neg_lo:[0,0,1] neg_hi:[0,0,1]
	s_waitcnt vmcnt(0) lgkmcnt(0)
	s_barrier
	v_pk_mul_f16 v43, v37, v49 op_sel:[0,1]
	v_pk_fma_f16 v44, v37, v49, v43 op_sel:[0,0,1] op_sel_hi:[1,1,0] neg_lo:[0,0,1] neg_hi:[0,0,1]
	v_pk_fma_f16 v37, v37, v49, v43 op_sel:[0,0,1] op_sel_hi:[1,0,0]
	v_pk_mul_f16 v43, v36, v52 op_sel:[0,1]
	v_bfi_b32 v37, s2, v44, v37
	v_pk_fma_f16 v44, v36, v52, v43 op_sel:[0,0,1] op_sel_hi:[1,1,0] neg_lo:[0,0,1] neg_hi:[0,0,1]
	v_pk_fma_f16 v36, v36, v52, v43 op_sel:[0,0,1] op_sel_hi:[1,0,0]
	v_pk_mul_f16 v43, v56, v11 op_sel:[0,1]
	v_bfi_b32 v36, s2, v44, v36
	;; [unrolled: 4-line block ×5, first 2 shown]
	v_pk_fma_f16 v44, v66, v6, v43 op_sel:[0,0,1] op_sel_hi:[1,1,0] neg_lo:[0,0,1] neg_hi:[0,0,1]
	v_pk_fma_f16 v6, v66, v6, v43 op_sel:[0,0,1] op_sel_hi:[1,0,0]
	v_bfi_b32 v6, s2, v44, v6
	v_pk_add_f16 v6, v4, v6 neg_lo:[0,1] neg_hi:[0,1]
	v_pk_add_f16 v37, v13, v37 neg_lo:[0,1] neg_hi:[0,1]
	;; [unrolled: 1-line block ×6, first 2 shown]
	v_pk_fma_f16 v4, v4, 2.0, v6 op_sel_hi:[1,0,1] neg_lo:[0,0,1] neg_hi:[0,0,1]
	v_pk_fma_f16 v13, v13, 2.0, v37 op_sel_hi:[1,0,1] neg_lo:[0,0,1] neg_hi:[0,0,1]
	v_pk_fma_f16 v12, v12, 2.0, v36 op_sel_hi:[1,0,1] neg_lo:[0,0,1] neg_hi:[0,0,1]
	v_pk_fma_f16 v9, v9, 2.0, v11 op_sel_hi:[1,0,1] neg_lo:[0,0,1] neg_hi:[0,0,1]
	v_pk_fma_f16 v8, v8, 2.0, v10 op_sel_hi:[1,0,1] neg_lo:[0,0,1] neg_hi:[0,0,1]
	v_pk_fma_f16 v5, v5, 2.0, v7 op_sel_hi:[1,0,1] neg_lo:[0,0,1] neg_hi:[0,0,1]
	ds_write2_b32 v64, v4, v6 offset1:17
	ds_write2_b32 v60, v5, v7 offset1:17
	ds_write2_b32 v57, v8, v10 offset1:17
	ds_write2_b32 v54, v9, v11 offset1:17
	ds_write2_b32 v50, v12, v36 offset1:17
	ds_write2_b32 v47, v13, v37 offset1:17
	ds_write2_b32 v48, v14, v16 offset1:17
	ds_write2_b32 v42, v15, v17 offset1:17
	v_lshrrev_b32_e32 v36, 21, v41
	v_mul_lo_u16_e32 v4, 34, v36
	v_sub_u16_e32 v4, v39, v4
	v_lshlrev_b32_e32 v37, 2, v4
	v_mul_lo_u16_e32 v4, 34, v40
	v_sub_u16_e32 v4, v38, v4
	v_lshrrev_b32_e32 v16, 21, v46
	v_lshlrev_b32_e32 v38, 2, v4
	v_mul_lo_u16_e32 v4, 34, v16
	v_sub_u16_e32 v4, v18, v4
	v_lshrrev_b32_e32 v43, 21, v33
	;; [unrolled: 4-line block ×4, first 2 shown]
	s_waitcnt lgkmcnt(0)
	s_barrier
	global_load_dword v39, v37, s[8:9] offset:68
	global_load_dword v41, v38, s[8:9] offset:68
	;; [unrolled: 1-line block ×3, first 2 shown]
	v_lshlrev_b32_e32 v47, 2, v4
	global_load_dword v48, v47, s[8:9] offset:68
	v_mul_lo_u16_e32 v4, 34, v49
	v_sub_u16_e32 v4, v30, v4
	v_lshlrev_b32_e32 v50, 2, v4
	global_load_dword v52, v50, s[8:9] offset:68
	v_mul_lo_u16_e32 v4, 34, v53
	v_sub_u16_e32 v4, v34, v4
	v_lshrrev_b16_e32 v56, 13, v63
	v_lshlrev_b32_sdwa v54, v19, v4 dst_sel:DWORD dst_unused:UNUSED_PAD src0_sel:DWORD src1_sel:BYTE_0
	global_load_dword v55, v54, s[8:9] offset:68
	v_mul_lo_u16_e32 v4, 34, v56
	v_sub_u16_e32 v4, v0, v4
	v_lshlrev_b32_sdwa v57, v19, v4 dst_sel:DWORD dst_unused:UNUSED_PAD src0_sel:DWORD src1_sel:BYTE_0
	global_load_dword v58, v57, s[8:9] offset:68
	global_load_dword v42, v17, s[8:9] offset:68
	ds_read2_b32 v[4:5], v20 offset1:102
	ds_read2_b32 v[6:7], v26 offset0:48 offset1:150
	ds_read2_b32 v[8:9], v23 offset0:76 offset1:178
	;; [unrolled: 1-line block ×5, first 2 shown]
	v_mul_u32_u24_e32 v27, 0x110, v56
	v_add3_u32 v28, 0, v27, v57
	v_mul_u32_u24_e32 v27, 0x110, v53
	v_add3_u32 v53, 0, v27, v54
	;; [unrolled: 2-line block ×4, first 2 shown]
	v_mul_u32_u24_e32 v27, 0x110, v43
	v_mul_u32_u24_e32 v16, 0x110, v16
	v_add3_u32 v43, 0, v27, v44
	v_add3_u32 v44, 0, v16, v17
	ds_read2_b32 v[16:17], v22 offset0:148 offset1:250
	v_mul_u32_u24_e32 v27, 0x110, v40
	v_add3_u32 v38, 0, v27, v38
	v_mul_u32_u24_e32 v27, 0x110, v36
	v_add3_u32 v40, 0, v27, v37
	s_waitcnt vmcnt(7) lgkmcnt(0)
	v_pk_mul_f16 v27, v17, v39 op_sel:[0,1]
	v_pk_fma_f16 v36, v17, v39, v27 op_sel:[0,0,1] op_sel_hi:[1,1,0] neg_lo:[0,0,1] neg_hi:[0,0,1]
	v_pk_fma_f16 v17, v17, v39, v27 op_sel:[0,0,1] op_sel_hi:[1,0,0]
	v_bfi_b32 v17, s2, v36, v17
	ds_read2_b32 v[36:37], v51 offset0:72 offset1:174
	v_pk_add_f16 v27, v15, v17 neg_lo:[0,1] neg_hi:[0,1]
	s_waitcnt vmcnt(6)
	v_pk_mul_f16 v17, v16, v41 op_sel:[0,1]
	v_pk_fma_f16 v39, v16, v41, v17 op_sel:[0,0,1] op_sel_hi:[1,1,0] neg_lo:[0,0,1] neg_hi:[0,0,1]
	v_pk_fma_f16 v16, v16, v41, v17 op_sel:[0,0,1] op_sel_hi:[1,0,0]
	v_bfi_b32 v16, s2, v39, v16
	v_pk_add_f16 v16, v14, v16 neg_lo:[0,1] neg_hi:[0,1]
	v_pk_fma_f16 v15, v15, 2.0, v27 op_sel_hi:[1,0,1] neg_lo:[0,0,1] neg_hi:[0,0,1]
	v_pk_fma_f16 v14, v14, 2.0, v16 op_sel_hi:[1,0,1] neg_lo:[0,0,1] neg_hi:[0,0,1]
	s_waitcnt vmcnt(0) lgkmcnt(0)
	s_barrier
	v_pk_mul_f16 v17, v37, v42 op_sel:[0,1]
	v_pk_fma_f16 v39, v37, v42, v17 op_sel:[0,0,1] op_sel_hi:[1,1,0] neg_lo:[0,0,1] neg_hi:[0,0,1]
	v_pk_fma_f16 v17, v37, v42, v17 op_sel:[0,0,1] op_sel_hi:[1,0,0]
	v_pk_mul_f16 v37, v36, v45 op_sel:[0,1]
	v_bfi_b32 v17, s2, v39, v17
	v_pk_fma_f16 v39, v36, v45, v37 op_sel:[0,0,1] op_sel_hi:[1,1,0] neg_lo:[0,0,1] neg_hi:[0,0,1]
	v_pk_fma_f16 v36, v36, v45, v37 op_sel:[0,0,1] op_sel_hi:[1,0,0]
	v_pk_mul_f16 v37, v48, v11 op_sel:[0,1]
	v_bfi_b32 v36, s2, v39, v36
	;; [unrolled: 4-line block ×5, first 2 shown]
	v_pk_fma_f16 v39, v58, v6, v37 op_sel:[0,0,1] op_sel_hi:[1,1,0] neg_lo:[0,0,1] neg_hi:[0,0,1]
	v_pk_fma_f16 v6, v58, v6, v37 op_sel:[0,0,1] op_sel_hi:[1,0,0]
	v_bfi_b32 v6, s2, v39, v6
	v_pk_add_f16 v6, v4, v6 neg_lo:[0,1] neg_hi:[0,1]
	v_pk_add_f16 v17, v13, v17 neg_lo:[0,1] neg_hi:[0,1]
	;; [unrolled: 1-line block ×6, first 2 shown]
	v_pk_fma_f16 v4, v4, 2.0, v6 op_sel_hi:[1,0,1] neg_lo:[0,0,1] neg_hi:[0,0,1]
	v_pk_fma_f16 v13, v13, 2.0, v17 op_sel_hi:[1,0,1] neg_lo:[0,0,1] neg_hi:[0,0,1]
	;; [unrolled: 1-line block ×6, first 2 shown]
	ds_write2_b32 v28, v4, v6 offset1:34
	ds_write2_b32 v53, v5, v7 offset1:34
	;; [unrolled: 1-line block ×8, first 2 shown]
	v_add_u32_e32 v4, 0x600, v20
	s_waitcnt lgkmcnt(0)
	s_barrier
	ds_read2_b32 v[8:9], v20 offset1:102
	ds_read2_b32 v[4:5], v4 offset0:24 offset1:160
	ds_read2_b32 v[12:13], v24 offset0:64 offset1:166
	;; [unrolled: 1-line block ×6, first 2 shown]
	ds_read_b32 v25, v20 offset:5984
	v_lshrrev_b32_e32 v22, 16, v27
                                        ; implicit-def: $vgpr24
                                        ; implicit-def: $vgpr23
	s_and_saveexec_b64 s[2:3], vcc
	s_cbranch_execz .LBB0_15
; %bb.14:
	ds_read_b32 v27, v20 offset:2040
	ds_read_b32 v1, v20 offset:4216
	;; [unrolled: 1-line block ×3, first 2 shown]
	s_waitcnt lgkmcnt(2)
	v_lshrrev_b32_e32 v22, 16, v27
	s_waitcnt lgkmcnt(1)
	v_lshrrev_b32_e32 v21, 16, v1
	;; [unrolled: 2-line block ×3, first 2 shown]
.LBB0_15:
	s_or_b64 exec, exec, s[2:3]
	s_movk_i32 s2, 0x44
	v_add_u32_e32 v26, 0xffffffbc, v0
	v_cmp_gt_u32_e64 s[2:3], s2, v0
	v_cndmask_b32_e64 v26, v26, v0, s[2:3]
	v_lshlrev_b32_e32 v36, 1, v26
	v_mov_b32_e32 v37, 0
	v_lshlrev_b64 v[36:37], 2, v[36:37]
	v_mov_b32_e32 v28, s9
	v_add_co_u32_e64 v36, s[2:3], s8, v36
	v_addc_co_u32_e64 v37, s[2:3], v28, v37, s[2:3]
	s_movk_i32 s2, 0x79
	v_mul_lo_u16_sdwa v28, v34, s2 dst_sel:DWORD dst_unused:UNUSED_PAD src0_sel:BYTE_0 src1_sel:DWORD
	v_lshrrev_b32_e32 v38, 22, v33
	v_lshrrev_b16_e32 v40, 13, v28
	v_mul_lo_u16_e32 v33, 0x44, v38
	v_mul_lo_u16_e32 v28, 0x44, v40
	v_lshrrev_b32_e32 v42, 22, v35
	v_sub_u16_e32 v39, v32, v33
	v_sub_u16_e32 v41, v34, v28
	v_mov_b32_e32 v28, 3
	v_mul_lo_u16_e32 v43, 0x44, v42
	v_lshlrev_b32_e32 v32, 3, v39
	v_lshlrev_b32_sdwa v28, v28, v41 dst_sel:DWORD dst_unused:UNUSED_PAD src0_sel:DWORD src1_sel:BYTE_0
	v_sub_u16_e32 v43, v30, v43
	global_load_dwordx2 v[32:33], v32, s[8:9] offset:204
	v_lshrrev_b32_e32 v44, 22, v31
	global_load_dwordx2 v[34:35], v28, s[8:9] offset:204
	v_lshlrev_b32_e32 v28, 3, v43
	global_load_dwordx2 v[36:37], v[36:37], off offset:204
	s_waitcnt lgkmcnt(1)
	v_lshrrev_b32_e32 v52, 16, v17
	global_load_dwordx2 v[30:31], v28, s[8:9] offset:204
	v_mul_lo_u16_e32 v28, 0x44, v44
	v_sub_u16_e32 v45, v29, v28
	v_lshlrev_b32_e32 v28, 3, v45
	global_load_dwordx2 v[28:29], v28, s[8:9] offset:204
	v_lshrrev_b32_e32 v54, 16, v5
	v_lshrrev_b32_e32 v55, 16, v12
	;; [unrolled: 1-line block ×3, first 2 shown]
	s_waitcnt lgkmcnt(0)
	v_lshrrev_b32_e32 v53, 16, v25
	v_lshrrev_b32_e32 v56, 16, v14
	v_lshrrev_b32_e32 v57, 16, v13
	v_lshrrev_b32_e32 v46, 16, v8
	s_movk_i32 s4, 0x3aee
	s_mov_b32 s5, 0xbaee
	v_lshrrev_b32_e32 v58, 16, v15
	v_lshrrev_b32_e32 v59, 16, v10
	;; [unrolled: 1-line block ×7, first 2 shown]
	s_movk_i32 s2, 0x43
	v_cmp_lt_u32_e64 s[2:3], s2, v0
	v_lshlrev_b32_e32 v26, 2, v26
	s_waitcnt vmcnt(0)
	s_barrier
	v_mul_f16_sdwa v61, v52, v32 dst_sel:DWORD dst_unused:UNUSED_PAD src0_sel:DWORD src1_sel:WORD_1
	v_mul_f16_sdwa v62, v17, v32 dst_sel:DWORD dst_unused:UNUSED_PAD src0_sel:DWORD src1_sel:WORD_1
	v_fma_f16 v17, v17, v32, -v61
	v_fma_f16 v32, v52, v32, v62
	v_mul_f16_sdwa v52, v36, v54 dst_sel:DWORD dst_unused:UNUSED_PAD src0_sel:WORD_1 src1_sel:DWORD
	v_mul_f16_sdwa v62, v37, v55 dst_sel:DWORD dst_unused:UNUSED_PAD src0_sel:WORD_1 src1_sel:DWORD
	v_mul_f16_sdwa v63, v53, v33 dst_sel:DWORD dst_unused:UNUSED_PAD src0_sel:DWORD src1_sel:WORD_1
	v_mul_f16_sdwa v61, v36, v5 dst_sel:DWORD dst_unused:UNUSED_PAD src0_sel:WORD_1 src1_sel:DWORD
	v_mul_f16_sdwa v64, v37, v12 dst_sel:DWORD dst_unused:UNUSED_PAD src0_sel:WORD_1 src1_sel:DWORD
	v_fma_f16 v5, v36, v5, -v52
	v_mul_f16_sdwa v75, v50, v29 dst_sel:DWORD dst_unused:UNUSED_PAD src0_sel:DWORD src1_sel:WORD_1
	v_mul_f16_sdwa v76, v11, v29 dst_sel:DWORD dst_unused:UNUSED_PAD src0_sel:DWORD src1_sel:WORD_1
	v_fma_f16 v12, v37, v12, -v62
	v_fma_f16 v36, v36, v54, v61
	v_fma_f16 v37, v37, v55, v64
	v_fma_f16 v11, v11, v29, -v75
	v_fma_f16 v29, v50, v29, v76
	v_fma_f16 v50, v25, v33, -v63
	v_mul_f16_sdwa v25, v25, v33 dst_sel:DWORD dst_unused:UNUSED_PAD src0_sel:DWORD src1_sel:WORD_1
	v_add_f16_e32 v52, v5, v12
	v_mul_f16_sdwa v65, v34, v56 dst_sel:DWORD dst_unused:UNUSED_PAD src0_sel:WORD_1 src1_sel:DWORD
	v_mul_f16_sdwa v67, v35, v57 dst_sel:DWORD dst_unused:UNUSED_PAD src0_sel:WORD_1 src1_sel:DWORD
	v_fma_f16 v25, v53, v33, v25
	v_add_f16_e32 v33, v8, v5
	v_fma_f16 v8, v52, -0.5, v8
	v_sub_f16_e32 v52, v36, v37
	v_mul_f16_sdwa v66, v34, v14 dst_sel:DWORD dst_unused:UNUSED_PAD src0_sel:WORD_1 src1_sel:DWORD
	v_mul_f16_sdwa v68, v35, v13 dst_sel:DWORD dst_unused:UNUSED_PAD src0_sel:WORD_1 src1_sel:DWORD
	v_fma_f16 v14, v34, v14, -v65
	v_fma_f16 v13, v35, v13, -v67
	v_fma_f16 v53, v52, s4, v8
	v_fma_f16 v8, v52, s5, v8
	v_add_f16_e32 v52, v46, v36
	v_add_f16_e32 v36, v36, v37
	v_fma_f16 v34, v34, v56, v66
	v_fma_f16 v35, v35, v57, v68
	v_add_f16_e32 v52, v52, v37
	v_fma_f16 v36, v36, -0.5, v46
	v_sub_f16_e32 v5, v5, v12
	v_add_f16_e32 v37, v14, v13
	v_mul_f16_sdwa v69, v30, v58 dst_sel:DWORD dst_unused:UNUSED_PAD src0_sel:WORD_1 src1_sel:DWORD
	v_mul_f16_sdwa v71, v31, v59 dst_sel:DWORD dst_unused:UNUSED_PAD src0_sel:WORD_1 src1_sel:DWORD
	v_add_f16_e32 v33, v33, v12
	v_fma_f16 v12, v5, s5, v36
	v_fma_f16 v5, v5, s4, v36
	v_add_f16_e32 v36, v9, v14
	v_fma_f16 v9, v37, -0.5, v9
	v_sub_f16_e32 v37, v34, v35
	v_mul_f16_sdwa v70, v30, v15 dst_sel:DWORD dst_unused:UNUSED_PAD src0_sel:WORD_1 src1_sel:DWORD
	v_mul_f16_sdwa v72, v31, v10 dst_sel:DWORD dst_unused:UNUSED_PAD src0_sel:WORD_1 src1_sel:DWORD
	v_fma_f16 v15, v30, v15, -v69
	v_fma_f16 v10, v31, v10, -v71
	v_fma_f16 v46, v37, s4, v9
	v_fma_f16 v9, v37, s5, v9
	v_add_f16_e32 v37, v47, v34
	v_add_f16_e32 v34, v34, v35
	v_fma_f16 v30, v30, v58, v70
	v_fma_f16 v31, v31, v59, v72
	v_add_f16_e32 v36, v36, v13
	v_add_f16_e32 v37, v37, v35
	v_fma_f16 v34, v34, -0.5, v47
	v_sub_f16_e32 v13, v14, v13
	v_add_f16_e32 v35, v15, v10
	v_mul_f16_sdwa v73, v28, v60 dst_sel:DWORD dst_unused:UNUSED_PAD src0_sel:WORD_1 src1_sel:DWORD
	v_fma_f16 v14, v13, s5, v34
	v_fma_f16 v13, v13, s4, v34
	v_add_f16_e32 v34, v6, v15
	v_fma_f16 v6, v35, -0.5, v6
	v_sub_f16_e32 v35, v30, v31
	v_mul_f16_sdwa v74, v28, v16 dst_sel:DWORD dst_unused:UNUSED_PAD src0_sel:WORD_1 src1_sel:DWORD
	v_fma_f16 v16, v28, v16, -v73
	v_fma_f16 v47, v35, s4, v6
	v_fma_f16 v6, v35, s5, v6
	v_add_f16_e32 v35, v48, v30
	v_add_f16_e32 v30, v30, v31
	v_fma_f16 v28, v28, v60, v74
	v_add_f16_e32 v34, v34, v10
	v_add_f16_e32 v35, v35, v31
	v_fma_f16 v30, v30, -0.5, v48
	v_sub_f16_e32 v10, v15, v10
	v_add_f16_e32 v31, v16, v11
	v_fma_f16 v15, v10, s5, v30
	v_fma_f16 v10, v10, s4, v30
	v_add_f16_e32 v30, v7, v16
	v_fma_f16 v7, v31, -0.5, v7
	v_sub_f16_e32 v31, v28, v29
	v_fma_f16 v48, v31, s4, v7
	v_fma_f16 v7, v31, s5, v7
	v_add_f16_e32 v31, v49, v28
	v_add_f16_e32 v28, v28, v29
	;; [unrolled: 1-line block ×4, first 2 shown]
	v_fma_f16 v28, v28, -0.5, v49
	v_sub_f16_e32 v11, v16, v11
	v_add_f16_e32 v29, v17, v50
	v_fma_f16 v16, v11, s5, v28
	v_fma_f16 v11, v11, s4, v28
	v_add_f16_e32 v28, v4, v17
	v_fma_f16 v4, v29, -0.5, v4
	v_sub_f16_e32 v29, v32, v25
	v_fma_f16 v49, v29, s4, v4
	v_fma_f16 v4, v29, s5, v4
	v_add_f16_e32 v29, v51, v32
	v_add_f16_e32 v29, v29, v25
	v_add_f16_e32 v25, v32, v25
	v_fma_f16 v25, v25, -0.5, v51
	v_sub_f16_e32 v17, v17, v50
	v_fma_f16 v32, v17, s5, v25
	v_fma_f16 v17, v17, s4, v25
	v_mov_b32_e32 v25, 0x330
	v_cndmask_b32_e64 v25, 0, v25, s[2:3]
	v_add3_u32 v25, 0, v25, v26
	v_pack_b32_f16 v5, v8, v5
	v_pack_b32_f16 v26, v33, v52
	;; [unrolled: 1-line block ×3, first 2 shown]
	ds_write_b32 v25, v5 offset:544
	v_mul_u32_u24_e32 v5, 0x330, v40
	v_lshlrev_b32_sdwa v8, v19, v41 dst_sel:DWORD dst_unused:UNUSED_PAD src0_sel:DWORD src1_sel:BYTE_0
	ds_write2_b32 v25, v26, v12 offset1:68
	v_add3_u32 v5, 0, v5, v8
	v_pack_b32_f16 v8, v36, v37
	v_pack_b32_f16 v12, v46, v14
	ds_write2_b32 v5, v8, v12 offset1:68
	v_pack_b32_f16 v8, v9, v13
	ds_write_b32 v5, v8 offset:544
	v_mul_u32_u24_e32 v5, 0x330, v42
	v_lshlrev_b32_e32 v8, 2, v43
	v_add3_u32 v5, 0, v5, v8
	v_pack_b32_f16 v8, v34, v35
	v_pack_b32_f16 v9, v47, v15
	;; [unrolled: 1-line block ×3, first 2 shown]
	ds_write2_b32 v5, v8, v9 offset1:68
	ds_write_b32 v5, v6 offset:544
	v_mul_u32_u24_e32 v5, 0x330, v44
	v_lshlrev_b32_e32 v6, 2, v45
	v_add3_u32 v5, 0, v5, v6
	v_pack_b32_f16 v6, v30, v31
	v_pack_b32_f16 v8, v48, v16
	ds_write2_b32 v5, v6, v8 offset1:68
	v_pack_b32_f16 v6, v7, v11
	v_add_f16_e32 v28, v28, v50
	ds_write_b32 v5, v6 offset:544
	v_mul_u32_u24_e32 v5, 0x330, v38
	v_lshlrev_b32_e32 v6, 2, v39
	v_add3_u32 v5, 0, v5, v6
	v_pack_b32_f16 v6, v28, v29
	v_pack_b32_f16 v7, v49, v32
	;; [unrolled: 1-line block ×3, first 2 shown]
	ds_write2_b32 v5, v6, v7 offset1:68
	ds_write_b32 v5, v4 offset:544
	s_and_saveexec_b64 s[2:3], vcc
	s_cbranch_execz .LBB0_17
; %bb.16:
	s_mov_b32 s6, 0xf0f1
	v_mul_u32_u24_sdwa v4, v18, s6 dst_sel:DWORD dst_unused:UNUSED_PAD src0_sel:WORD_0 src1_sel:DWORD
	v_lshrrev_b32_e32 v4, 22, v4
	v_mul_lo_u16_e32 v4, 0x44, v4
	v_sub_u16_e32 v6, v18, v4
	v_lshlrev_b32_e32 v4, 3, v6
	global_load_dwordx2 v[4:5], v4, s[8:9] offset:204
	v_lshl_add_u32 v6, v6, 2, 0
	v_add_u32_e32 v7, 0x1400, v6
	s_waitcnt vmcnt(0)
	v_mul_f16_sdwa v8, v23, v5 dst_sel:DWORD dst_unused:UNUSED_PAD src0_sel:DWORD src1_sel:WORD_1
	v_mul_f16_sdwa v9, v1, v4 dst_sel:DWORD dst_unused:UNUSED_PAD src0_sel:DWORD src1_sel:WORD_1
	v_mul_f16_sdwa v10, v21, v4 dst_sel:DWORD dst_unused:UNUSED_PAD src0_sel:DWORD src1_sel:WORD_1
	v_mul_f16_sdwa v11, v24, v5 dst_sel:DWORD dst_unused:UNUSED_PAD src0_sel:DWORD src1_sel:WORD_1
	v_fma_f16 v8, v24, v5, v8
	v_fma_f16 v9, v21, v4, v9
	v_fma_f16 v1, v1, v4, -v10
	v_fma_f16 v4, v23, v5, -v11
	v_add_f16_e32 v5, v22, v9
	v_add_f16_e32 v10, v27, v1
	v_sub_f16_e32 v11, v1, v4
	v_add_f16_e32 v12, v9, v8
	v_add_f16_e32 v1, v1, v4
	v_sub_f16_e32 v9, v9, v8
	v_add_f16_e32 v5, v5, v8
	v_fma_f16 v8, v12, -0.5, v22
	v_fma_f16 v1, v1, -0.5, v27
	v_add_f16_e32 v4, v10, v4
	v_fma_f16 v10, v11, s4, v8
	v_fma_f16 v8, v11, s5, v8
	;; [unrolled: 1-line block ×4, first 2 shown]
	v_pack_b32_f16 v4, v4, v5
	v_pack_b32_f16 v1, v1, v8
	v_pack_b32_f16 v5, v11, v10
	ds_write2_b32 v7, v4, v1 offset0:148 offset1:216
	ds_write_b32 v6, v5 offset:6256
.LBB0_17:
	s_or_b64 exec, exec, s[2:3]
	v_mul_u32_u24_e32 v1, 7, v0
	v_lshlrev_b32_e32 v1, 2, v1
	s_waitcnt lgkmcnt(0)
	s_barrier
	global_load_dwordx4 v[4:7], v1, s[8:9] offset:748
	global_load_dwordx3 v[12:14], v1, s[8:9] offset:764
	global_load_dwordx4 v[8:11], v1, s[8:9] offset:3604
	global_load_dwordx3 v[15:17], v1, s[8:9] offset:3620
	v_add_u32_e32 v1, 0x200, v20
	ds_read2_b32 v[18:19], v20 offset1:102
	v_add_u32_e32 v35, 0x400, v20
	v_add_u32_e32 v36, 0x800, v20
	;; [unrolled: 1-line block ×6, first 2 shown]
	ds_read2_b32 v[21:22], v1 offset0:76 offset1:178
	ds_read2_b32 v[23:24], v35 offset0:152 offset1:254
	;; [unrolled: 1-line block ×7, first 2 shown]
	s_waitcnt lgkmcnt(4)
	v_lshrrev_b32_e32 v41, 16, v25
	v_lshrrev_b32_e32 v48, 16, v26
	s_waitcnt lgkmcnt(3)
	v_lshrrev_b32_e32 v49, 16, v28
	v_lshrrev_b32_e32 v42, 16, v27
	;; [unrolled: 3-line block ×3, first 2 shown]
	v_lshrrev_b32_e32 v51, 16, v21
	v_lshrrev_b32_e32 v52, 16, v23
	s_waitcnt lgkmcnt(1)
	v_lshrrev_b32_e32 v53, 16, v31
	s_waitcnt lgkmcnt(0)
	v_lshrrev_b32_e32 v54, 16, v33
	s_mov_b32 s2, 0xb9a8
	v_lshrrev_b32_e32 v44, 16, v22
	v_lshrrev_b32_e32 v45, 16, v24
	;; [unrolled: 1-line block ×4, first 2 shown]
	s_movk_i32 s3, 0x39a8
	s_waitcnt vmcnt(0)
	s_barrier
	s_add_u32 s4, s8, 0x193c
	s_addc_u32 s5, s9, 0
	v_cmp_ne_u32_e32 vcc, 0, v0
	v_mul_f16_sdwa v55, v4, v51 dst_sel:DWORD dst_unused:UNUSED_PAD src0_sel:WORD_1 src1_sel:DWORD
	v_mul_f16_sdwa v63, v41, v12 dst_sel:DWORD dst_unused:UNUSED_PAD src0_sel:DWORD src1_sel:WORD_1
	v_mul_f16_sdwa v64, v25, v12 dst_sel:DWORD dst_unused:UNUSED_PAD src0_sel:DWORD src1_sel:WORD_1
	;; [unrolled: 1-line block ×3, first 2 shown]
	v_fma_f16 v25, v25, v12, -v63
	v_fma_f16 v12, v41, v12, v64
	v_fma_f16 v41, v26, v15, -v77
	v_mul_f16_sdwa v26, v26, v15 dst_sel:DWORD dst_unused:UNUSED_PAD src0_sel:DWORD src1_sel:WORD_1
	v_fma_f16 v15, v48, v15, v26
	v_mul_f16_sdwa v26, v49, v16 dst_sel:DWORD dst_unused:UNUSED_PAD src0_sel:DWORD src1_sel:WORD_1
	v_fma_f16 v26, v28, v16, -v26
	v_mul_f16_sdwa v28, v28, v16 dst_sel:DWORD dst_unused:UNUSED_PAD src0_sel:DWORD src1_sel:WORD_1
	v_mul_f16_sdwa v57, v5, v52 dst_sel:DWORD dst_unused:UNUSED_PAD src0_sel:WORD_1 src1_sel:DWORD
	v_mul_f16_sdwa v58, v5, v23 dst_sel:DWORD dst_unused:UNUSED_PAD src0_sel:WORD_1 src1_sel:DWORD
	;; [unrolled: 1-line block ×5, first 2 shown]
	v_mul_f16_sdwa v65, v42, v13 dst_sel:DWORD dst_unused:UNUSED_PAD src0_sel:DWORD src1_sel:WORD_1
	v_mul_f16_sdwa v66, v27, v13 dst_sel:DWORD dst_unused:UNUSED_PAD src0_sel:DWORD src1_sel:WORD_1
	;; [unrolled: 1-line block ×4, first 2 shown]
	v_fma_f16 v16, v49, v16, v28
	v_mul_f16_sdwa v28, v50, v17 dst_sel:DWORD dst_unused:UNUSED_PAD src0_sel:DWORD src1_sel:WORD_1
	v_mul_f16_sdwa v56, v4, v21 dst_sel:DWORD dst_unused:UNUSED_PAD src0_sel:WORD_1 src1_sel:DWORD
	v_mul_f16_sdwa v62, v7, v33 dst_sel:DWORD dst_unused:UNUSED_PAD src0_sel:WORD_1 src1_sel:DWORD
	v_fma_f16 v21, v4, v21, -v55
	v_fma_f16 v23, v5, v23, -v57
	v_fma_f16 v5, v5, v52, v58
	v_fma_f16 v31, v6, v31, -v59
	v_fma_f16 v6, v6, v53, v60
	v_fma_f16 v33, v7, v33, -v61
	v_fma_f16 v27, v27, v13, -v65
	v_fma_f16 v13, v42, v13, v66
	v_fma_f16 v29, v29, v14, -v67
	v_fma_f16 v14, v43, v14, v68
	v_fma_f16 v28, v30, v17, -v28
	v_mul_f16_sdwa v30, v30, v17 dst_sel:DWORD dst_unused:UNUSED_PAD src0_sel:DWORD src1_sel:WORD_1
	v_fma_f16 v4, v4, v51, v56
	v_fma_f16 v7, v7, v54, v62
	;; [unrolled: 1-line block ×3, first 2 shown]
	v_lshrrev_b32_e32 v30, 16, v18
	v_sub_f16_e32 v33, v18, v33
	v_sub_f16_e32 v13, v5, v13
	v_sub_f16_e32 v25, v21, v25
	v_sub_f16_e32 v14, v6, v14
	v_sub_f16_e32 v7, v30, v7
	v_sub_f16_e32 v27, v23, v27
	v_fma_f16 v5, v5, 2.0, -v13
	v_sub_f16_e32 v12, v4, v12
	v_sub_f16_e32 v29, v31, v29
	v_fma_f16 v6, v6, 2.0, -v14
	v_sub_f16_e32 v13, v33, v13
	v_sub_f16_e32 v14, v25, v14
	v_fma_f16 v18, v18, 2.0, -v33
	v_fma_f16 v23, v23, 2.0, -v27
	;; [unrolled: 1-line block ×4, first 2 shown]
	v_add_f16_e32 v27, v7, v27
	v_fma_f16 v33, v33, 2.0, -v13
	v_add_f16_e32 v29, v12, v29
	v_fma_f16 v25, v25, 2.0, -v14
	v_fma_f16 v30, v30, 2.0, -v7
	;; [unrolled: 1-line block ×5, first 2 shown]
	v_fma_f16 v42, v25, s2, v33
	v_mul_f16_sdwa v69, v44, v8 dst_sel:DWORD dst_unused:UNUSED_PAD src0_sel:DWORD src1_sel:WORD_1
	v_mul_f16_sdwa v70, v22, v8 dst_sel:DWORD dst_unused:UNUSED_PAD src0_sel:DWORD src1_sel:WORD_1
	;; [unrolled: 1-line block ×8, first 2 shown]
	v_fma_f16 v43, v12, s2, v7
	v_fma_f16 v12, v12, s2, v42
	;; [unrolled: 1-line block ×3, first 2 shown]
	v_fma_f16 v22, v22, v8, -v69
	v_fma_f16 v8, v44, v8, v70
	v_fma_f16 v24, v24, v9, -v71
	v_fma_f16 v9, v45, v9, v72
	;; [unrolled: 2-line block ×4, first 2 shown]
	v_fma_f16 v25, v25, s3, v43
	v_fma_f16 v43, v29, s3, v27
	;; [unrolled: 1-line block ×3, first 2 shown]
	v_lshrrev_b32_e32 v42, 16, v19
	v_sub_f16_e32 v34, v19, v34
	v_sub_f16_e32 v11, v42, v11
	;; [unrolled: 1-line block ×8, first 2 shown]
	v_fma_f16 v24, v24, 2.0, -v26
	v_fma_f16 v9, v9, 2.0, -v16
	v_fma_f16 v32, v32, 2.0, -v28
	v_fma_f16 v10, v10, 2.0, -v17
	v_sub_f16_e32 v16, v34, v16
	v_add_f16_e32 v26, v11, v26
	v_sub_f16_e32 v17, v41, v17
	v_add_f16_e32 v28, v15, v28
	v_fma_f16 v19, v19, 2.0, -v34
	v_fma_f16 v42, v42, 2.0, -v11
	;; [unrolled: 1-line block ×8, first 2 shown]
	v_fma_f16 v14, v14, s3, v43
	v_fma_f16 v43, v41, s2, v34
	;; [unrolled: 1-line block ×3, first 2 shown]
	v_sub_f16_e32 v23, v18, v23
	v_sub_f16_e32 v5, v30, v5
	;; [unrolled: 1-line block ×8, first 2 shown]
	v_fma_f16 v15, v15, s2, v43
	v_fma_f16 v41, v41, s3, v44
	v_fma_f16 v21, v21, 2.0, -v31
	v_fma_f16 v4, v4, 2.0, -v6
	;; [unrolled: 1-line block ×4, first 2 shown]
	v_sub_f16_e32 v6, v23, v6
	v_add_f16_e32 v31, v5, v31
	v_fma_f16 v22, v22, 2.0, -v32
	v_fma_f16 v8, v8, 2.0, -v10
	;; [unrolled: 1-line block ×4, first 2 shown]
	v_sub_f16_e32 v10, v24, v10
	v_add_f16_e32 v32, v9, v32
	v_fma_f16 v43, v17, s3, v16
	v_fma_f16 v44, v28, s3, v26
	v_fma_f16 v18, v18, 2.0, -v23
	v_fma_f16 v30, v30, 2.0, -v5
	;; [unrolled: 1-line block ×8, first 2 shown]
	v_fma_f16 v28, v28, s2, v43
	v_fma_f16 v17, v17, s3, v44
	v_pack_b32_f16 v7, v33, v7
	v_pack_b32_f16 v11, v34, v11
	v_fma_f16 v13, v13, 2.0, -v29
	v_fma_f16 v27, v27, 2.0, -v14
	;; [unrolled: 1-line block ×4, first 2 shown]
	v_pack_b32_f16 v5, v23, v5
	ds_write2_b32 v1, v7, v11 offset0:76 offset1:178
	v_pack_b32_f16 v1, v24, v9
	v_sub_f16_e32 v21, v18, v21
	v_sub_f16_e32 v4, v30, v4
	;; [unrolled: 1-line block ×4, first 2 shown]
	v_pack_b32_f16 v13, v13, v27
	ds_write2_b32 v35, v5, v1 offset0:152 offset1:254
	v_pack_b32_f16 v1, v16, v26
	v_fma_f16 v30, v30, 2.0, -v4
	v_pack_b32_f16 v4, v21, v4
	ds_write2_b32 v36, v13, v1 offset0:100 offset1:202
	v_pack_b32_f16 v1, v22, v8
	v_pack_b32_f16 v12, v12, v25
	ds_write2_b32 v37, v4, v1 offset0:48 offset1:150
	v_pack_b32_f16 v1, v15, v41
	v_fma_f16 v18, v18, 2.0, -v21
	v_fma_f16 v19, v19, 2.0, -v22
	;; [unrolled: 1-line block ×3, first 2 shown]
	v_pack_b32_f16 v6, v6, v31
	ds_write2_b32 v38, v12, v1 offset0:124 offset1:226
	v_pack_b32_f16 v1, v10, v32
	v_pack_b32_f16 v18, v18, v30
	;; [unrolled: 1-line block ×4, first 2 shown]
	ds_write2_b32 v39, v6, v1 offset0:72 offset1:174
	v_pack_b32_f16 v1, v28, v17
	ds_write2_b32 v20, v18, v19 offset1:102
	ds_write2_b32 v40, v14, v1 offset0:148 offset1:250
	s_waitcnt lgkmcnt(0)
	s_barrier
	ds_read_b32 v10, v20
	v_lshlrev_b32_e32 v1, 2, v0
	v_sub_u32_e32 v6, 0, v1
                                        ; implicit-def: $vgpr9
                                        ; implicit-def: $vgpr7
                                        ; implicit-def: $vgpr8
                                        ; implicit-def: $vgpr4_vgpr5
	s_and_saveexec_b64 s[2:3], vcc
	s_xor_b64 s[2:3], exec, s[2:3]
	s_cbranch_execz .LBB0_19
; %bb.18:
	v_mov_b32_e32 v1, 0
	v_lshlrev_b64 v[4:5], 2, v[0:1]
	v_mov_b32_e32 v7, s5
	v_add_co_u32_e32 v4, vcc, s4, v4
	v_addc_co_u32_e32 v5, vcc, v7, v5, vcc
	global_load_dword v4, v[4:5], off
	ds_read_b32 v5, v6 offset:6528
	s_mov_b32 s6, 0xffff
	s_waitcnt lgkmcnt(0)
	v_pk_add_f16 v7, v10, v5 neg_lo:[0,1] neg_hi:[0,1]
	v_pk_add_f16 v5, v5, v10
	v_bfi_b32 v8, s6, v7, v5
	v_bfi_b32 v5, s6, v5, v7
	v_pk_mul_f16 v7, v8, 0.5 op_sel_hi:[1,0]
	v_pk_mul_f16 v8, v5, 0.5 op_sel_hi:[1,0]
                                        ; implicit-def: $vgpr10
	s_waitcnt vmcnt(0)
	v_pk_mul_f16 v9, v4, v7 op_sel:[1,0]
	v_pk_mul_f16 v4, v4, v7 op_sel_hi:[0,1]
	v_pk_fma_f16 v5, v5, 0.5, v9 op_sel_hi:[1,0,1]
	v_sub_f16_e32 v7, v8, v9
	v_sub_f16_sdwa v8, v9, v8 dst_sel:DWORD dst_unused:UNUSED_PAD src0_sel:WORD_1 src1_sel:WORD_1
	v_pk_add_f16 v9, v5, v4 op_sel:[0,1] op_sel_hi:[1,0]
	v_pk_add_f16 v5, v5, v4 op_sel:[0,1] op_sel_hi:[1,0] neg_lo:[0,1] neg_hi:[0,1]
	v_sub_f16_sdwa v7, v7, v4 dst_sel:DWORD dst_unused:UNUSED_PAD src0_sel:DWORD src1_sel:WORD_1
	v_sub_f16_e32 v8, v8, v4
	v_bfi_b32 v9, s6, v9, v5
	v_mov_b32_e32 v5, v1
	v_mov_b32_e32 v4, v0
.LBB0_19:
	s_andn2_saveexec_b64 s[2:3], s[2:3]
	s_cbranch_execz .LBB0_21
; %bb.20:
	v_mov_b32_e32 v8, 0
	ds_read_u16 v1, v8 offset:3266
	s_waitcnt lgkmcnt(1)
	v_alignbit_b32 v9, s0, v10, 16
	v_mov_b32_e32 v4, 0
	v_pk_add_f16 v9, v9, v10
	v_sub_f16_sdwa v7, v10, v10 dst_sel:DWORD dst_unused:UNUSED_PAD src0_sel:DWORD src1_sel:WORD_1
	v_mov_b32_e32 v5, 0
	s_waitcnt lgkmcnt(0)
	v_xor_b32_e32 v1, 0x8000, v1
	v_pack_b32_f16 v9, v9, 0
	ds_write_b16 v8, v1 offset:3266
.LBB0_21:
	s_or_b64 exec, exec, s[2:3]
	v_lshlrev_b64 v[4:5], 2, v[4:5]
	v_mov_b32_e32 v1, s5
	s_waitcnt lgkmcnt(0)
	v_add_co_u32_e32 v10, vcc, s4, v4
	v_addc_co_u32_e32 v11, vcc, v1, v5, vcc
	global_load_dword v1, v[10:11], off offset:408
	global_load_dword v12, v[10:11], off offset:816
	;; [unrolled: 1-line block ×3, first 2 shown]
	ds_write_b16 v6, v8 offset:6530
	ds_write_b32 v20, v9
	ds_write_b16 v6, v7 offset:6528
	ds_read_b32 v7, v20 offset:408
	ds_read_b32 v8, v6 offset:6120
	global_load_dword v9, v[10:11], off offset:1632
	global_load_dword v14, v[10:11], off offset:2040
	;; [unrolled: 1-line block ×4, first 2 shown]
	s_mov_b32 s2, 0xffff
	s_waitcnt lgkmcnt(0)
	v_pk_add_f16 v10, v7, v8 neg_lo:[0,1] neg_hi:[0,1]
	v_pk_add_f16 v7, v7, v8
	v_bfi_b32 v8, s2, v10, v7
	v_bfi_b32 v7, s2, v7, v10
	v_pk_mul_f16 v8, v8, 0.5 op_sel_hi:[1,0]
	v_pk_mul_f16 v10, v7, 0.5 op_sel_hi:[1,0]
	s_waitcnt vmcnt(6)
	v_pk_mul_f16 v11, v1, v8 op_sel:[1,0]
	v_pk_mul_f16 v1, v1, v8 op_sel_hi:[0,1]
	v_pk_fma_f16 v7, v7, 0.5, v11 op_sel_hi:[1,0,1]
	v_sub_f16_e32 v8, v10, v11
	v_sub_f16_sdwa v10, v11, v10 dst_sel:DWORD dst_unused:UNUSED_PAD src0_sel:WORD_1 src1_sel:WORD_1
	v_pk_add_f16 v11, v7, v1 op_sel:[0,1] op_sel_hi:[1,0]
	v_pk_add_f16 v7, v7, v1 op_sel:[0,1] op_sel_hi:[1,0] neg_lo:[0,1] neg_hi:[0,1]
	v_sub_f16_sdwa v8, v8, v1 dst_sel:DWORD dst_unused:UNUSED_PAD src0_sel:DWORD src1_sel:WORD_1
	v_sub_f16_e32 v1, v10, v1
	v_bfi_b32 v7, s2, v11, v7
	ds_write_b16 v6, v1 offset:6122
	ds_write_b32 v20, v7 offset:408
	ds_write_b16 v6, v8 offset:6120
	ds_read_b32 v1, v20 offset:816
	ds_read_b32 v7, v6 offset:5712
	s_waitcnt lgkmcnt(0)
	v_pk_add_f16 v8, v1, v7 neg_lo:[0,1] neg_hi:[0,1]
	v_pk_add_f16 v1, v1, v7
	v_bfi_b32 v7, s2, v8, v1
	v_bfi_b32 v1, s2, v1, v8
	v_pk_mul_f16 v7, v7, 0.5 op_sel_hi:[1,0]
	v_pk_mul_f16 v8, v1, 0.5 op_sel_hi:[1,0]
	s_waitcnt vmcnt(5)
	v_pk_mul_f16 v10, v12, v7 op_sel:[1,0]
	v_pk_mul_f16 v7, v12, v7 op_sel_hi:[0,1]
	v_pk_fma_f16 v1, v1, 0.5, v10 op_sel_hi:[1,0,1]
	v_sub_f16_e32 v11, v8, v10
	v_sub_f16_sdwa v8, v10, v8 dst_sel:DWORD dst_unused:UNUSED_PAD src0_sel:WORD_1 src1_sel:WORD_1
	v_pk_add_f16 v10, v1, v7 op_sel:[0,1] op_sel_hi:[1,0]
	v_pk_add_f16 v1, v1, v7 op_sel:[0,1] op_sel_hi:[1,0] neg_lo:[0,1] neg_hi:[0,1]
	v_sub_f16_sdwa v11, v11, v7 dst_sel:DWORD dst_unused:UNUSED_PAD src0_sel:DWORD src1_sel:WORD_1
	v_sub_f16_e32 v7, v8, v7
	v_bfi_b32 v1, s2, v10, v1
	ds_write_b16 v6, v7 offset:5714
	ds_write_b32 v20, v1 offset:816
	ds_write_b16 v6, v11 offset:5712
	ds_read_b32 v1, v20 offset:1224
	ds_read_b32 v7, v6 offset:5304
	;; [unrolled: 23-line block ×4, first 2 shown]
	s_waitcnt lgkmcnt(0)
	v_pk_add_f16 v8, v1, v7 neg_lo:[0,1] neg_hi:[0,1]
	v_pk_add_f16 v1, v1, v7
	v_bfi_b32 v7, s2, v8, v1
	v_bfi_b32 v1, s2, v1, v8
	v_pk_mul_f16 v7, v7, 0.5 op_sel_hi:[1,0]
	v_pk_mul_f16 v1, v1, 0.5 op_sel_hi:[1,0]
	s_waitcnt vmcnt(2)
	v_pk_fma_f16 v8, v14, v7, v1 op_sel:[1,0,0]
	v_pk_mul_f16 v9, v14, v7 op_sel_hi:[0,1]
	v_pk_fma_f16 v10, v14, v7, v1 op_sel:[1,0,0] neg_lo:[1,0,0] neg_hi:[1,0,0]
	v_pk_fma_f16 v1, v14, v7, v1 op_sel:[1,0,0] neg_lo:[0,0,1] neg_hi:[0,0,1]
	v_pk_add_f16 v7, v8, v9 op_sel:[0,1] op_sel_hi:[1,0]
	v_pk_add_f16 v8, v8, v9 op_sel:[0,1] op_sel_hi:[1,0] neg_lo:[0,1] neg_hi:[0,1]
	v_pk_add_f16 v10, v10, v9 op_sel:[0,1] op_sel_hi:[1,0] neg_lo:[0,1] neg_hi:[0,1]
	;; [unrolled: 1-line block ×3, first 2 shown]
	v_bfi_b32 v7, s2, v7, v8
	v_bfi_b32 v1, s2, v10, v1
	ds_write_b32 v20, v7 offset:2040
	ds_write_b32 v6, v1 offset:4488
	ds_read_b32 v1, v20 offset:2448
	ds_read_b32 v7, v6 offset:4080
	s_waitcnt lgkmcnt(0)
	v_pk_add_f16 v8, v1, v7 neg_lo:[0,1] neg_hi:[0,1]
	v_pk_add_f16 v1, v1, v7
	v_bfi_b32 v7, s2, v8, v1
	v_bfi_b32 v1, s2, v1, v8
	v_pk_mul_f16 v7, v7, 0.5 op_sel_hi:[1,0]
	v_pk_mul_f16 v8, v1, 0.5 op_sel_hi:[1,0]
	s_waitcnt vmcnt(1)
	v_pk_mul_f16 v9, v15, v7 op_sel:[1,0]
	v_pk_mul_f16 v7, v15, v7 op_sel_hi:[0,1]
	v_pk_fma_f16 v1, v1, 0.5, v9 op_sel_hi:[1,0,1]
	v_sub_f16_e32 v10, v8, v9
	v_sub_f16_sdwa v8, v9, v8 dst_sel:DWORD dst_unused:UNUSED_PAD src0_sel:WORD_1 src1_sel:WORD_1
	v_pk_add_f16 v9, v1, v7 op_sel:[0,1] op_sel_hi:[1,0]
	v_pk_add_f16 v1, v1, v7 op_sel:[0,1] op_sel_hi:[1,0] neg_lo:[0,1] neg_hi:[0,1]
	v_sub_f16_sdwa v10, v10, v7 dst_sel:DWORD dst_unused:UNUSED_PAD src0_sel:DWORD src1_sel:WORD_1
	v_sub_f16_e32 v7, v8, v7
	v_bfi_b32 v1, s2, v9, v1
	ds_write_b16 v6, v7 offset:4082
	ds_write_b32 v20, v1 offset:2448
	ds_write_b16 v6, v10 offset:4080
	ds_read_b32 v1, v20 offset:2856
	ds_read_b32 v7, v6 offset:3672
	s_waitcnt lgkmcnt(0)
	v_pk_add_f16 v8, v1, v7 neg_lo:[0,1] neg_hi:[0,1]
	v_pk_add_f16 v1, v1, v7
	v_bfi_b32 v7, s2, v8, v1
	v_bfi_b32 v1, s2, v1, v8
	v_pk_mul_f16 v7, v7, 0.5 op_sel_hi:[1,0]
	v_pk_mul_f16 v1, v1, 0.5 op_sel_hi:[1,0]
	s_waitcnt vmcnt(0)
	v_pk_fma_f16 v8, v16, v7, v1 op_sel:[1,0,0]
	v_pk_mul_f16 v9, v16, v7 op_sel_hi:[0,1]
	v_pk_fma_f16 v10, v16, v7, v1 op_sel:[1,0,0] neg_lo:[1,0,0] neg_hi:[1,0,0]
	v_pk_fma_f16 v1, v16, v7, v1 op_sel:[1,0,0] neg_lo:[0,0,1] neg_hi:[0,0,1]
	v_pk_add_f16 v7, v8, v9 op_sel:[0,1] op_sel_hi:[1,0]
	v_pk_add_f16 v8, v8, v9 op_sel:[0,1] op_sel_hi:[1,0] neg_lo:[0,1] neg_hi:[0,1]
	v_pk_add_f16 v10, v10, v9 op_sel:[0,1] op_sel_hi:[1,0] neg_lo:[0,1] neg_hi:[0,1]
	;; [unrolled: 1-line block ×3, first 2 shown]
	v_bfi_b32 v7, s2, v7, v8
	v_bfi_b32 v1, s2, v10, v1
	ds_write_b32 v20, v7 offset:2856
	ds_write_b32 v6, v1 offset:3672
	s_waitcnt lgkmcnt(0)
	s_barrier
	s_and_saveexec_b64 s[2:3], s[0:1]
	s_cbranch_execz .LBB0_24
; %bb.22:
	v_mov_b32_e32 v1, s13
	v_add_co_u32_e32 v2, vcc, s12, v2
	v_addc_co_u32_e32 v1, vcc, v1, v3, vcc
	ds_read2_b32 v[6:7], v20 offset1:102
	v_add_co_u32_e32 v3, vcc, v2, v4
	v_addc_co_u32_e32 v4, vcc, v1, v5, vcc
	v_add_u32_e32 v5, 0x200, v20
	ds_read2_b32 v[8:9], v5 offset0:76 offset1:178
	v_add_u32_e32 v5, 0x400, v20
	ds_read2_b32 v[10:11], v5 offset0:152 offset1:254
	s_waitcnt lgkmcnt(2)
	global_store_dword v[3:4], v6, off
	global_store_dword v[3:4], v7, off offset:408
	s_waitcnt lgkmcnt(1)
	global_store_dword v[3:4], v8, off offset:816
	global_store_dword v[3:4], v9, off offset:1224
	s_waitcnt lgkmcnt(0)
	global_store_dword v[3:4], v10, off offset:1632
	global_store_dword v[3:4], v11, off offset:2040
	v_add_u32_e32 v5, 0x800, v20
	ds_read2_b32 v[5:6], v5 offset0:100 offset1:202
	v_add_u32_e32 v7, 0xc00, v20
	ds_read2_b32 v[7:8], v7 offset0:48 offset1:150
	;; [unrolled: 2-line block ×3, first 2 shown]
	s_waitcnt lgkmcnt(2)
	global_store_dword v[3:4], v5, off offset:2448
	global_store_dword v[3:4], v6, off offset:2856
	s_waitcnt lgkmcnt(1)
	global_store_dword v[3:4], v7, off offset:3264
	global_store_dword v[3:4], v8, off offset:3672
	s_waitcnt lgkmcnt(0)
	global_store_dword v[3:4], v9, off offset:4080
	v_add_u32_e32 v5, 0x1200, v20
	s_movk_i32 s0, 0x1000
	ds_read2_b32 v[5:6], v5 offset0:72 offset1:174
	v_add_u32_e32 v7, 0x1400, v20
	v_add_co_u32_e32 v3, vcc, s0, v3
	ds_read2_b32 v[7:8], v7 offset0:148 offset1:250
	v_addc_co_u32_e32 v4, vcc, 0, v4, vcc
	s_movk_i32 s0, 0x65
	v_cmp_eq_u32_e32 vcc, s0, v0
	global_store_dword v[3:4], v10, off offset:392
	s_waitcnt lgkmcnt(1)
	global_store_dword v[3:4], v5, off offset:800
	global_store_dword v[3:4], v6, off offset:1208
	s_waitcnt lgkmcnt(0)
	global_store_dword v[3:4], v7, off offset:1616
	global_store_dword v[3:4], v8, off offset:2024
	s_and_b64 exec, exec, vcc
	s_cbranch_execz .LBB0_24
; %bb.23:
	v_mov_b32_e32 v0, 0
	ds_read_b32 v3, v0 offset:6528
	v_add_co_u32_e32 v0, vcc, 0x1000, v2
	v_addc_co_u32_e32 v1, vcc, 0, v1, vcc
	s_waitcnt lgkmcnt(0)
	global_store_dword v[0:1], v3, off offset:2432
.LBB0_24:
	s_endpgm
	.section	.rodata,"a",@progbits
	.p2align	6, 0x0
	.amdhsa_kernel fft_rtc_fwd_len1632_factors_17_2_2_3_8_wgs_102_tpt_102_halfLds_half_ip_CI_unitstride_sbrr_R2C_dirReg
		.amdhsa_group_segment_fixed_size 0
		.amdhsa_private_segment_fixed_size 0
		.amdhsa_kernarg_size 88
		.amdhsa_user_sgpr_count 6
		.amdhsa_user_sgpr_private_segment_buffer 1
		.amdhsa_user_sgpr_dispatch_ptr 0
		.amdhsa_user_sgpr_queue_ptr 0
		.amdhsa_user_sgpr_kernarg_segment_ptr 1
		.amdhsa_user_sgpr_dispatch_id 0
		.amdhsa_user_sgpr_flat_scratch_init 0
		.amdhsa_user_sgpr_private_segment_size 0
		.amdhsa_uses_dynamic_stack 0
		.amdhsa_system_sgpr_private_segment_wavefront_offset 0
		.amdhsa_system_sgpr_workgroup_id_x 1
		.amdhsa_system_sgpr_workgroup_id_y 0
		.amdhsa_system_sgpr_workgroup_id_z 0
		.amdhsa_system_sgpr_workgroup_info 0
		.amdhsa_system_vgpr_workitem_id 0
		.amdhsa_next_free_vgpr 155
		.amdhsa_next_free_sgpr 32
		.amdhsa_reserve_vcc 1
		.amdhsa_reserve_flat_scratch 0
		.amdhsa_float_round_mode_32 0
		.amdhsa_float_round_mode_16_64 0
		.amdhsa_float_denorm_mode_32 3
		.amdhsa_float_denorm_mode_16_64 3
		.amdhsa_dx10_clamp 1
		.amdhsa_ieee_mode 1
		.amdhsa_fp16_overflow 0
		.amdhsa_exception_fp_ieee_invalid_op 0
		.amdhsa_exception_fp_denorm_src 0
		.amdhsa_exception_fp_ieee_div_zero 0
		.amdhsa_exception_fp_ieee_overflow 0
		.amdhsa_exception_fp_ieee_underflow 0
		.amdhsa_exception_fp_ieee_inexact 0
		.amdhsa_exception_int_div_zero 0
	.end_amdhsa_kernel
	.text
.Lfunc_end0:
	.size	fft_rtc_fwd_len1632_factors_17_2_2_3_8_wgs_102_tpt_102_halfLds_half_ip_CI_unitstride_sbrr_R2C_dirReg, .Lfunc_end0-fft_rtc_fwd_len1632_factors_17_2_2_3_8_wgs_102_tpt_102_halfLds_half_ip_CI_unitstride_sbrr_R2C_dirReg
                                        ; -- End function
	.section	.AMDGPU.csdata,"",@progbits
; Kernel info:
; codeLenInByte = 13604
; NumSgprs: 36
; NumVgprs: 155
; ScratchSize: 0
; MemoryBound: 0
; FloatMode: 240
; IeeeMode: 1
; LDSByteSize: 0 bytes/workgroup (compile time only)
; SGPRBlocks: 4
; VGPRBlocks: 38
; NumSGPRsForWavesPerEU: 36
; NumVGPRsForWavesPerEU: 155
; Occupancy: 1
; WaveLimiterHint : 1
; COMPUTE_PGM_RSRC2:SCRATCH_EN: 0
; COMPUTE_PGM_RSRC2:USER_SGPR: 6
; COMPUTE_PGM_RSRC2:TRAP_HANDLER: 0
; COMPUTE_PGM_RSRC2:TGID_X_EN: 1
; COMPUTE_PGM_RSRC2:TGID_Y_EN: 0
; COMPUTE_PGM_RSRC2:TGID_Z_EN: 0
; COMPUTE_PGM_RSRC2:TIDIG_COMP_CNT: 0
	.type	__hip_cuid_14101ce37fe3ce62,@object ; @__hip_cuid_14101ce37fe3ce62
	.section	.bss,"aw",@nobits
	.globl	__hip_cuid_14101ce37fe3ce62
__hip_cuid_14101ce37fe3ce62:
	.byte	0                               ; 0x0
	.size	__hip_cuid_14101ce37fe3ce62, 1

	.ident	"AMD clang version 19.0.0git (https://github.com/RadeonOpenCompute/llvm-project roc-6.4.0 25133 c7fe45cf4b819c5991fe208aaa96edf142730f1d)"
	.section	".note.GNU-stack","",@progbits
	.addrsig
	.addrsig_sym __hip_cuid_14101ce37fe3ce62
	.amdgpu_metadata
---
amdhsa.kernels:
  - .args:
      - .actual_access:  read_only
        .address_space:  global
        .offset:         0
        .size:           8
        .value_kind:     global_buffer
      - .offset:         8
        .size:           8
        .value_kind:     by_value
      - .actual_access:  read_only
        .address_space:  global
        .offset:         16
        .size:           8
        .value_kind:     global_buffer
      - .actual_access:  read_only
        .address_space:  global
        .offset:         24
        .size:           8
        .value_kind:     global_buffer
      - .offset:         32
        .size:           8
        .value_kind:     by_value
      - .actual_access:  read_only
        .address_space:  global
        .offset:         40
        .size:           8
        .value_kind:     global_buffer
      - .actual_access:  read_only
        .address_space:  global
        .offset:         48
        .size:           8
        .value_kind:     global_buffer
      - .offset:         56
        .size:           4
        .value_kind:     by_value
      - .actual_access:  read_only
        .address_space:  global
        .offset:         64
        .size:           8
        .value_kind:     global_buffer
      - .actual_access:  read_only
        .address_space:  global
        .offset:         72
        .size:           8
        .value_kind:     global_buffer
      - .address_space:  global
        .offset:         80
        .size:           8
        .value_kind:     global_buffer
    .group_segment_fixed_size: 0
    .kernarg_segment_align: 8
    .kernarg_segment_size: 88
    .language:       OpenCL C
    .language_version:
      - 2
      - 0
    .max_flat_workgroup_size: 102
    .name:           fft_rtc_fwd_len1632_factors_17_2_2_3_8_wgs_102_tpt_102_halfLds_half_ip_CI_unitstride_sbrr_R2C_dirReg
    .private_segment_fixed_size: 0
    .sgpr_count:     36
    .sgpr_spill_count: 0
    .symbol:         fft_rtc_fwd_len1632_factors_17_2_2_3_8_wgs_102_tpt_102_halfLds_half_ip_CI_unitstride_sbrr_R2C_dirReg.kd
    .uniform_work_group_size: 1
    .uses_dynamic_stack: false
    .vgpr_count:     155
    .vgpr_spill_count: 0
    .wavefront_size: 64
amdhsa.target:   amdgcn-amd-amdhsa--gfx906
amdhsa.version:
  - 1
  - 2
...

	.end_amdgpu_metadata
